;; amdgpu-corpus repo=ROCm/rocFFT kind=compiled arch=gfx1030 opt=O3
	.text
	.amdgcn_target "amdgcn-amd-amdhsa--gfx1030"
	.amdhsa_code_object_version 6
	.protected	bluestein_single_back_len1925_dim1_half_op_CI_CI ; -- Begin function bluestein_single_back_len1925_dim1_half_op_CI_CI
	.globl	bluestein_single_back_len1925_dim1_half_op_CI_CI
	.p2align	8
	.type	bluestein_single_back_len1925_dim1_half_op_CI_CI,@function
bluestein_single_back_len1925_dim1_half_op_CI_CI: ; @bluestein_single_back_len1925_dim1_half_op_CI_CI
; %bb.0:
	s_load_dwordx4 s[16:19], s[4:5], 0x28
	v_mul_u32_u24_e32 v1, 0x4a8, v0
	v_mov_b32_e32 v89, 0
	s_mov_b32 s0, exec_lo
	v_lshrrev_b32_e32 v1, 16, v1
	v_add_nc_u32_e32 v88, s6, v1
	s_waitcnt lgkmcnt(0)
	v_cmpx_gt_u64_e64 s[16:17], v[88:89]
	s_cbranch_execz .LBB0_10
; %bb.1:
	s_clause 0x1
	s_load_dwordx4 s[0:3], s[4:5], 0x18
	s_load_dwordx4 s[8:11], s[4:5], 0x0
	v_mul_lo_u16 v1, v1, 55
	v_mov_b32_e32 v44, 2
                                        ; implicit-def: $vgpr111
                                        ; implicit-def: $vgpr90
                                        ; implicit-def: $vgpr89
                                        ; implicit-def: $vgpr68
                                        ; implicit-def: $vgpr67
                                        ; implicit-def: $vgpr110
                                        ; implicit-def: $vgpr117
                                        ; implicit-def: $vgpr137
                                        ; implicit-def: $vgpr138
                                        ; implicit-def: $vgpr188
	v_sub_nc_u16 v8, v0, v1
	v_and_b32_e32 v172, 0xffff, v8
	v_mul_lo_u16 v45, v8, 7
	v_lshlrev_b32_e32 v139, 2, v172
	v_lshlrev_b32_sdwa v115, v44, v45 dst_sel:DWORD dst_unused:UNUSED_PAD src0_sel:DWORD src1_sel:WORD_0
	v_add_co_u32 v70, null, 0xa5, v172
	s_waitcnt lgkmcnt(0)
	s_load_dwordx4 s[12:15], s[0:1], 0x0
	v_add_co_u32 v7, s0, s8, v139
	v_add_co_ci_u32_e64 v13, null, s9, 0, s0
	s_clause 0x1
	global_load_dword v175, v139, s[8:9]
	global_load_dword v174, v139, s[8:9] offset:1100
	v_add_co_u32 v9, vcc_lo, 0x800, v7
	v_add_co_ci_u32_e32 v10, vcc_lo, 0, v13, vcc_lo
	v_add_co_u32 v11, vcc_lo, 0x1000, v7
	v_add_co_ci_u32_e32 v12, vcc_lo, 0, v13, vcc_lo
	global_load_dword v173, v[9:10], off offset:152
	v_add_nc_u32_e32 v46, 0xa00, v139
	v_add_nc_u32_e32 v48, 0xe00, v139
	;; [unrolled: 1-line block ×3, first 2 shown]
	s_waitcnt lgkmcnt(0)
	v_mad_u64_u32 v[0:1], null, s14, v88, 0
	v_mad_u64_u32 v[2:3], null, s12, v172, 0
	s_mul_i32 s0, s13, 0x44c
	s_mul_hi_u32 s6, s12, 0x44c
	s_mul_i32 s1, s12, 0x44c
	s_add_i32 s0, s6, s0
	s_mul_i32 s7, s13, 0xffffe714
	s_mul_i32 s6, s12, 0xffffe714
	v_mad_u64_u32 v[4:5], null, s15, v88, v[1:2]
	v_mad_u64_u32 v[5:6], null, s13, v172, v[3:4]
	v_mov_b32_e32 v1, v4
	s_mul_hi_u32 s13, s12, 0xffffe714
	s_sub_i32 s12, s13, s12
	v_lshlrev_b64 v[0:1], 2, v[0:1]
	v_mov_b32_e32 v3, v5
	s_add_i32 s7, s12, s7
	s_load_dwordx2 s[12:13], s[4:5], 0x38
	v_lshlrev_b64 v[2:3], 2, v[2:3]
	v_add_co_u32 v4, vcc_lo, s18, v0
	v_add_co_ci_u32_e32 v5, vcc_lo, s19, v1, vcc_lo
	v_add_co_u32 v0, vcc_lo, 0x1800, v7
	v_add_co_ci_u32_e32 v1, vcc_lo, 0, v13, vcc_lo
	;; [unrolled: 2-line block ×3, first 2 shown]
	global_load_dword v4, v[2:3], off
	v_add_co_u32 v2, vcc_lo, v2, s1
	v_add_co_ci_u32_e32 v3, vcc_lo, s0, v3, vcc_lo
	v_add_co_u32 v6, vcc_lo, v2, s1
	v_add_co_ci_u32_e32 v7, vcc_lo, s0, v3, vcc_lo
	global_load_dword v5, v[2:3], off
	v_add_co_u32 v13, vcc_lo, v6, s1
	v_add_co_ci_u32_e32 v14, vcc_lo, s0, v7, vcc_lo
	global_load_dword v171, v[9:10], off offset:1252
	global_load_dword v3, v[6:7], off
	s_clause 0x1
	global_load_dword v170, v[11:12], off offset:304
	global_load_dword v169, v[11:12], off offset:1404
	global_load_dword v2, v[13:14], off
	v_add_co_u32 v6, vcc_lo, v13, s1
	v_add_co_ci_u32_e32 v7, vcc_lo, s0, v14, vcc_lo
	v_add_co_u32 v13, vcc_lo, v6, s1
	v_add_co_ci_u32_e32 v14, vcc_lo, s0, v7, vcc_lo
	global_load_dword v16, v[6:7], off
	v_add_co_u32 v6, vcc_lo, v13, s1
	v_add_co_ci_u32_e32 v7, vcc_lo, s0, v14, vcc_lo
	global_load_dword v15, v[13:14], off
	;; [unrolled: 3-line block ×3, first 2 shown]
	s_clause 0x1
	global_load_dword v168, v[0:1], off offset:456
	global_load_dword v167, v139, s[8:9] offset:220
	global_load_dword v7, v[13:14], off
	v_add_co_u32 v13, vcc_lo, v13, s1
	v_add_co_ci_u32_e32 v14, vcc_lo, s0, v14, vcc_lo
	v_add_co_u32 v19, vcc_lo, v13, s1
	v_add_co_ci_u32_e32 v20, vcc_lo, s0, v14, vcc_lo
	global_load_dword v17, v[13:14], off
	s_clause 0x2
	global_load_dword v166, v139, s[8:9] offset:1320
	global_load_dword v165, v[9:10], off offset:372
	global_load_dword v164, v[9:10], off offset:1472
	global_load_dword v18, v[19:20], off
	v_add_co_u32 v13, vcc_lo, v19, s1
	v_add_co_ci_u32_e32 v14, vcc_lo, s0, v20, vcc_lo
	global_load_dword v163, v[11:12], off offset:524
	v_add_co_u32 v20, vcc_lo, v13, s1
	v_add_co_ci_u32_e32 v21, vcc_lo, s0, v14, vcc_lo
	global_load_dword v19, v[13:14], off
	v_add_co_u32 v13, vcc_lo, v20, s1
	v_add_co_ci_u32_e32 v14, vcc_lo, s0, v21, vcc_lo
	global_load_dword v20, v[20:21], off
	v_add_co_u32 v21, vcc_lo, v13, s1
	v_add_co_ci_u32_e32 v22, vcc_lo, s0, v14, vcc_lo
	s_clause 0x1
	global_load_dword v160, v139, s[8:9] offset:440
	global_load_dword v159, v139, s[8:9] offset:1540
	global_load_dword v23, v[13:14], off
	global_load_dword v162, v[11:12], off offset:1624
	global_load_dword v24, v[21:22], off
	v_add_co_u32 v13, vcc_lo, v21, s6
	v_add_co_ci_u32_e32 v14, vcc_lo, s7, v22, vcc_lo
	global_load_dword v161, v[0:1], off offset:676
	v_add_co_u32 v21, vcc_lo, v13, s1
	v_add_co_ci_u32_e32 v22, vcc_lo, s0, v14, vcc_lo
	global_load_dword v25, v[13:14], off
	v_add_co_u32 v13, vcc_lo, v21, s1
	v_add_co_ci_u32_e32 v14, vcc_lo, s0, v22, vcc_lo
	global_load_dword v26, v[21:22], off
	;; [unrolled: 3-line block ×3, first 2 shown]
	global_load_dword v158, v[9:10], off offset:592
	global_load_dword v28, v[21:22], off
	v_add_co_u32 v13, vcc_lo, v21, s1
	v_add_co_ci_u32_e32 v14, vcc_lo, s0, v22, vcc_lo
	global_load_dword v157, v[9:10], off offset:1692
	v_add_co_u32 v21, vcc_lo, v13, s1
	v_add_co_ci_u32_e32 v22, vcc_lo, s0, v14, vcc_lo
	global_load_dword v29, v[13:14], off
	global_load_dword v156, v[11:12], off offset:744
	global_load_dword v30, v[21:22], off
	v_add_co_u32 v13, vcc_lo, v21, s1
	v_add_co_ci_u32_e32 v14, vcc_lo, s0, v22, vcc_lo
	global_load_dword v155, v[11:12], off offset:1844
	v_add_co_u32 v21, vcc_lo, v13, s6
	v_add_co_ci_u32_e32 v22, vcc_lo, s7, v14, vcc_lo
	global_load_dword v31, v[13:14], off
	global_load_dword v154, v[0:1], off offset:896
	global_load_dword v32, v[21:22], off
	v_add_co_u32 v13, vcc_lo, v21, s1
	v_add_co_ci_u32_e32 v14, vcc_lo, s0, v22, vcc_lo
	global_load_dword v153, v139, s[8:9] offset:660
	v_add_co_u32 v21, vcc_lo, v13, s1
	v_add_co_ci_u32_e32 v22, vcc_lo, s0, v14, vcc_lo
	global_load_dword v33, v[13:14], off
	s_clause 0x1
	global_load_dword v152, v139, s[8:9] offset:1760
	global_load_dword v151, v[9:10], off offset:812
	global_load_dword v34, v[21:22], off
	v_add_co_u32 v13, vcc_lo, v21, s1
	v_add_co_ci_u32_e32 v14, vcc_lo, s0, v22, vcc_lo
	global_load_dword v150, v[9:10], off offset:1912
	v_add_co_u32 v21, vcc_lo, v13, s1
	v_add_co_ci_u32_e32 v22, vcc_lo, s0, v14, vcc_lo
	global_load_dword v35, v[13:14], off
	v_add_co_u32 v13, vcc_lo, v21, s1
	v_add_co_ci_u32_e32 v14, vcc_lo, s0, v22, vcc_lo
	s_clause 0x1
	global_load_dword v146, v139, s[8:9] offset:880
	global_load_dword v149, v[11:12], off offset:964
	global_load_dword v36, v[21:22], off
	global_load_dword v148, v[0:1], off offset:16
	global_load_dword v37, v[13:14], off
	v_add_co_u32 v13, vcc_lo, v13, s1
	v_add_co_ci_u32_e32 v14, vcc_lo, s0, v14, vcc_lo
	global_load_dword v147, v[0:1], off offset:1116
	v_add_co_u32 v21, vcc_lo, v13, s6
	v_add_co_ci_u32_e32 v22, vcc_lo, s7, v14, vcc_lo
	global_load_dword v38, v[13:14], off
	v_add_co_u32 v13, vcc_lo, v21, s1
	v_add_co_ci_u32_e32 v14, vcc_lo, s0, v22, vcc_lo
	global_load_dword v39, v[21:22], off
	v_add_co_u32 v21, vcc_lo, v13, s1
	v_add_co_ci_u32_e32 v22, vcc_lo, s0, v14, vcc_lo
	s_clause 0x1
	global_load_dword v145, v139, s[8:9] offset:1980
	global_load_dword v144, v[9:10], off offset:1032
	global_load_dword v40, v[13:14], off
	global_load_dword v142, v[11:12], off offset:1184
	global_load_dword v41, v[21:22], off
	v_add_co_u32 v9, vcc_lo, v21, s1
	v_add_co_ci_u32_e32 v10, vcc_lo, s0, v22, vcc_lo
	global_load_dword v143, v[11:12], off offset:84
	v_add_co_u32 v11, vcc_lo, v9, s1
	v_add_co_ci_u32_e32 v12, vcc_lo, s0, v10, vcc_lo
	global_load_dword v21, v[9:10], off
	v_add_co_u32 v9, vcc_lo, v11, s1
	v_add_co_ci_u32_e32 v10, vcc_lo, s0, v12, vcc_lo
	global_load_dword v22, v[11:12], off
	;; [unrolled: 3-line block ×3, first 2 shown]
	global_load_dword v43, v[11:12], off
	s_clause 0x1
	global_load_dword v140, v[0:1], off offset:1336
	global_load_dword v141, v[0:1], off offset:236
	v_add_nc_u32_e32 v1, 0x400, v139
	v_add_nc_u32_e32 v11, 0x800, v139
	v_add_co_u32 v72, s0, v172, 55
	v_add_nc_u32_e32 v13, 0xc00, v139
	v_add_co_ci_u32_e64 v54, null, 0, 0, s0
	v_add_co_u32 v71, s0, 0x6e, v172
	v_add_co_ci_u32_e64 v0, null, 0, 0, s0
	v_add_nc_u32_e32 v0, 0x1000, v139
	v_add_nc_u32_e32 v12, 0x1400, v139
	;; [unrolled: 1-line block ×4, first 2 shown]
	s_load_dwordx4 s[4:7], s[2:3], 0x0
	v_add_nc_u32_e32 v14, 0x1a00, v139
	v_add_co_u32 v76, s0, 0xdc, v172
	v_cmp_gt_u16_e32 vcc_lo, 10, v8
	s_waitcnt vmcnt(62)
	v_lshrrev_b32_e32 v47, 16, v4
	v_mul_f16_sdwa v50, v175, v4 dst_sel:DWORD dst_unused:UNUSED_PAD src0_sel:WORD_1 src1_sel:DWORD
	v_mul_f16_sdwa v51, v175, v47 dst_sel:DWORD dst_unused:UNUSED_PAD src0_sel:WORD_1 src1_sel:DWORD
	v_fma_f16 v47, v175, v47, -v50
	v_lshrrev_b32_e32 v52, 16, v5
	v_mul_f16_sdwa v53, v174, v5 dst_sel:DWORD dst_unused:UNUSED_PAD src0_sel:WORD_1 src1_sel:DWORD
	v_fmac_f16_e32 v51, v175, v4
	v_lshrrev_b32_e32 v50, 16, v3
	v_mul_f16_sdwa v4, v174, v52 dst_sel:DWORD dst_unused:UNUSED_PAD src0_sel:WORD_1 src1_sel:DWORD
	v_fma_f16 v52, v174, v52, -v53
	v_mul_f16_sdwa v53, v173, v3 dst_sel:DWORD dst_unused:UNUSED_PAD src0_sel:WORD_1 src1_sel:DWORD
	v_pack_b32_f16 v47, v51, v47
	s_waitcnt vmcnt(60)
	v_lshrrev_b32_e32 v51, 16, v2
	v_fmac_f16_e32 v4, v174, v5
	v_mul_f16_sdwa v5, v173, v50 dst_sel:DWORD dst_unused:UNUSED_PAD src0_sel:WORD_1 src1_sel:DWORD
	v_mul_f16_sdwa v55, v171, v2 dst_sel:DWORD dst_unused:UNUSED_PAD src0_sel:WORD_1 src1_sel:DWORD
	v_fma_f16 v50, v173, v50, -v53
	v_pack_b32_f16 v4, v4, v52
	v_fmac_f16_e32 v5, v173, v3
	v_mul_f16_sdwa v3, v171, v51 dst_sel:DWORD dst_unused:UNUSED_PAD src0_sel:WORD_1 src1_sel:DWORD
	s_waitcnt vmcnt(59)
	v_lshrrev_b32_e32 v52, 16, v16
	v_mul_f16_sdwa v53, v170, v16 dst_sel:DWORD dst_unused:UNUSED_PAD src0_sel:WORD_1 src1_sel:DWORD
	v_fma_f16 v51, v171, v51, -v55
	ds_write_b32 v139, v4 offset:1100
	v_pack_b32_f16 v4, v5, v50
	v_fmac_f16_e32 v3, v171, v2
	v_mul_f16_sdwa v2, v170, v52 dst_sel:DWORD dst_unused:UNUSED_PAD src0_sel:WORD_1 src1_sel:DWORD
	v_fma_f16 v5, v170, v52, -v53
	s_waitcnt vmcnt(58)
	v_lshrrev_b32_e32 v50, 16, v15
	v_mul_f16_sdwa v52, v169, v15 dst_sel:DWORD dst_unused:UNUSED_PAD src0_sel:WORD_1 src1_sel:DWORD
	ds_write_b32 v139, v4 offset:2200
	v_pack_b32_f16 v3, v3, v51
	v_fmac_f16_e32 v2, v170, v16
	v_mul_f16_sdwa v4, v169, v50 dst_sel:DWORD dst_unused:UNUSED_PAD src0_sel:WORD_1 src1_sel:DWORD
	v_fma_f16 v16, v169, v50, -v52
	s_waitcnt vmcnt(57)
	v_lshrrev_b32_e32 v50, 16, v6
	s_waitcnt vmcnt(56)
	v_mul_f16_sdwa v51, v168, v6 dst_sel:DWORD dst_unused:UNUSED_PAD src0_sel:WORD_1 src1_sel:DWORD
	ds_write_b32 v139, v3 offset:3300
	v_pack_b32_f16 v2, v2, v5
	v_fmac_f16_e32 v4, v169, v15
	v_mul_f16_sdwa v3, v168, v50 dst_sel:DWORD dst_unused:UNUSED_PAD src0_sel:WORD_1 src1_sel:DWORD
	v_fma_f16 v5, v168, v50, -v51
	s_waitcnt vmcnt(54)
	v_lshrrev_b32_e32 v15, 16, v7
	v_mul_f16_sdwa v50, v167, v7 dst_sel:DWORD dst_unused:UNUSED_PAD src0_sel:WORD_1 src1_sel:DWORD
	ds_write_b32 v139, v2 offset:4400
	v_pack_b32_f16 v2, v4, v16
	v_fmac_f16_e32 v3, v168, v6
	v_mul_f16_sdwa v4, v167, v15 dst_sel:DWORD dst_unused:UNUSED_PAD src0_sel:WORD_1 src1_sel:DWORD
	v_fma_f16 v6, v167, v15, -v50
	s_waitcnt vmcnt(53)
	v_lshrrev_b32_e32 v15, 16, v17
	s_waitcnt vmcnt(52)
	v_mul_f16_sdwa v16, v166, v17 dst_sel:DWORD dst_unused:UNUSED_PAD src0_sel:WORD_1 src1_sel:DWORD
	ds_write_b32 v139, v2 offset:5500
	v_pack_b32_f16 v2, v3, v5
	v_fmac_f16_e32 v4, v167, v7
	v_mul_f16_sdwa v3, v166, v15 dst_sel:DWORD dst_unused:UNUSED_PAD src0_sel:WORD_1 src1_sel:DWORD
	v_fma_f16 v5, v166, v15, -v16
	s_waitcnt vmcnt(49)
	v_lshrrev_b32_e32 v7, 16, v18
	v_mul_f16_sdwa v15, v165, v18 dst_sel:DWORD dst_unused:UNUSED_PAD src0_sel:WORD_1 src1_sel:DWORD
	ds_write_b32 v139, v2 offset:6600
	v_pack_b32_f16 v2, v4, v6
	v_fmac_f16_e32 v3, v166, v17
	v_mul_f16_sdwa v4, v165, v7 dst_sel:DWORD dst_unused:UNUSED_PAD src0_sel:WORD_1 src1_sel:DWORD
	v_fma_f16 v6, v165, v7, -v15
	s_waitcnt vmcnt(47)
	v_lshrrev_b32_e32 v7, 16, v19
	v_mul_f16_sdwa v15, v164, v19 dst_sel:DWORD dst_unused:UNUSED_PAD src0_sel:WORD_1 src1_sel:DWORD
	ds_write2_b32 v139, v47, v2 offset1:55
	v_pack_b32_f16 v2, v3, v5
	v_fmac_f16_e32 v4, v165, v18
	v_mul_f16_sdwa v3, v164, v7 dst_sel:DWORD dst_unused:UNUSED_PAD src0_sel:WORD_1 src1_sel:DWORD
	s_waitcnt vmcnt(46)
	v_lshrrev_b32_e32 v5, 16, v20
	v_fma_f16 v7, v164, v7, -v15
	v_mul_f16_sdwa v15, v163, v20 dst_sel:DWORD dst_unused:UNUSED_PAD src0_sel:WORD_1 src1_sel:DWORD
	v_pack_b32_f16 v4, v4, v6
	v_fmac_f16_e32 v3, v164, v19
	v_mul_f16_sdwa v6, v163, v5 dst_sel:DWORD dst_unused:UNUSED_PAD src0_sel:WORD_1 src1_sel:DWORD
	s_waitcnt vmcnt(43)
	v_lshrrev_b32_e32 v16, 16, v23
	v_fma_f16 v5, v163, v5, -v15
	s_waitcnt vmcnt(42)
	v_mul_f16_sdwa v15, v162, v23 dst_sel:DWORD dst_unused:UNUSED_PAD src0_sel:WORD_1 src1_sel:DWORD
	v_pack_b32_f16 v3, v3, v7
	v_fmac_f16_e32 v6, v163, v20
	v_mul_f16_sdwa v7, v162, v16 dst_sel:DWORD dst_unused:UNUSED_PAD src0_sel:WORD_1 src1_sel:DWORD
	s_waitcnt vmcnt(41)
	v_lshrrev_b32_e32 v17, 16, v24
	v_fma_f16 v15, v162, v16, -v15
	s_waitcnt vmcnt(40)
	v_mul_f16_sdwa v16, v161, v24 dst_sel:DWORD dst_unused:UNUSED_PAD src0_sel:WORD_1 src1_sel:DWORD
	v_pack_b32_f16 v5, v6, v5
	v_fmac_f16_e32 v7, v162, v23
	v_mul_f16_sdwa v6, v161, v17 dst_sel:DWORD dst_unused:UNUSED_PAD src0_sel:WORD_1 src1_sel:DWORD
	s_waitcnt vmcnt(39)
	v_lshrrev_b32_e32 v18, 16, v25
	v_fma_f16 v16, v161, v17, -v16
	v_mul_f16_sdwa v17, v160, v25 dst_sel:DWORD dst_unused:UNUSED_PAD src0_sel:WORD_1 src1_sel:DWORD
	v_pack_b32_f16 v7, v7, v15
	v_fmac_f16_e32 v6, v161, v24
	v_mul_f16_sdwa v15, v160, v18 dst_sel:DWORD dst_unused:UNUSED_PAD src0_sel:WORD_1 src1_sel:DWORD
	s_waitcnt vmcnt(38)
	v_lshrrev_b32_e32 v19, 16, v26
	v_fma_f16 v17, v160, v18, -v17
	;; [unrolled: 7-line block ×3, first 2 shown]
	s_waitcnt vmcnt(36)
	v_mul_f16_sdwa v19, v158, v27 dst_sel:DWORD dst_unused:UNUSED_PAD src0_sel:WORD_1 src1_sel:DWORD
	v_pack_b32_f16 v15, v15, v17
	v_fmac_f16_e32 v16, v159, v26
	v_mul_f16_sdwa v17, v158, v20 dst_sel:DWORD dst_unused:UNUSED_PAD src0_sel:WORD_1 src1_sel:DWORD
	s_waitcnt vmcnt(35)
	v_lshrrev_b32_e32 v23, 16, v28
	s_waitcnt vmcnt(34)
	v_mul_f16_sdwa v24, v157, v28 dst_sel:DWORD dst_unused:UNUSED_PAD src0_sel:WORD_1 src1_sel:DWORD
	v_fma_f16 v19, v158, v20, -v19
	v_pack_b32_f16 v16, v16, v18
	v_fmac_f16_e32 v17, v158, v27
	v_mul_f16_sdwa v18, v157, v23 dst_sel:DWORD dst_unused:UNUSED_PAD src0_sel:WORD_1 src1_sel:DWORD
	v_fma_f16 v20, v157, v23, -v24
	s_waitcnt vmcnt(33)
	v_lshrrev_b32_e32 v23, 16, v29
	s_waitcnt vmcnt(32)
	v_mul_f16_sdwa v24, v156, v29 dst_sel:DWORD dst_unused:UNUSED_PAD src0_sel:WORD_1 src1_sel:DWORD
	ds_write2_b32 v1, v2, v16 offset0:74 offset1:129
	v_pack_b32_f16 v2, v17, v19
	v_fmac_f16_e32 v18, v157, v28
	v_mul_f16_sdwa v16, v156, v23 dst_sel:DWORD dst_unused:UNUSED_PAD src0_sel:WORD_1 src1_sel:DWORD
	v_fma_f16 v17, v156, v23, -v24
	s_waitcnt vmcnt(31)
	v_lshrrev_b32_e32 v19, 16, v30
	s_waitcnt vmcnt(30)
	v_mul_f16_sdwa v23, v155, v30 dst_sel:DWORD dst_unused:UNUSED_PAD src0_sel:WORD_1 src1_sel:DWORD
	ds_write2_b32 v11, v4, v2 offset0:93 offset1:148
	;; [unrolled: 9-line block ×5, first 2 shown]
	v_pack_b32_f16 v2, v3, v16
	v_fmac_f16_e32 v4, v153, v32
	v_mul_f16_sdwa v3, v152, v17 dst_sel:DWORD dst_unused:UNUSED_PAD src0_sel:WORD_1 src1_sel:DWORD
	s_waitcnt vmcnt(22)
	v_lshrrev_b32_e32 v16, 16, v34
	v_fma_f16 v7, v152, v17, -v18
	v_mul_f16_sdwa v17, v151, v34 dst_sel:DWORD dst_unused:UNUSED_PAD src0_sel:WORD_1 src1_sel:DWORD
	ds_write2_b32 v9, v6, v2 offset0:169 offset1:224
	v_pack_b32_f16 v2, v4, v5
	v_fmac_f16_e32 v3, v152, v33
	v_mul_f16_sdwa v4, v151, v16 dst_sel:DWORD dst_unused:UNUSED_PAD src0_sel:WORD_1 src1_sel:DWORD
	s_waitcnt vmcnt(20)
	v_lshrrev_b32_e32 v6, 16, v35
	v_fma_f16 v5, v151, v16, -v17
	v_mul_f16_sdwa v16, v150, v35 dst_sel:DWORD dst_unused:UNUSED_PAD src0_sel:WORD_1 src1_sel:DWORD
	ds_write2_b32 v139, v15, v2 offset0:110 offset1:165
	v_pack_b32_f16 v2, v3, v7
	v_fmac_f16_e32 v4, v151, v34
	v_mul_f16_sdwa v3, v150, v6 dst_sel:DWORD dst_unused:UNUSED_PAD src0_sel:WORD_1 src1_sel:DWORD
	s_waitcnt vmcnt(17)
	v_lshrrev_b32_e32 v7, 16, v36
	v_fma_f16 v6, v150, v6, -v16
	v_mul_f16_sdwa v15, v149, v36 dst_sel:DWORD dst_unused:UNUSED_PAD src0_sel:WORD_1 src1_sel:DWORD
	v_pack_b32_f16 v4, v4, v5
	v_fmac_f16_e32 v3, v150, v35
	v_mul_f16_sdwa v5, v149, v7 dst_sel:DWORD dst_unused:UNUSED_PAD src0_sel:WORD_1 src1_sel:DWORD
	s_waitcnt vmcnt(15)
	v_lshrrev_b32_e32 v16, 16, v37
	v_fma_f16 v7, v149, v7, -v15
	v_mul_f16_sdwa v15, v148, v37 dst_sel:DWORD dst_unused:UNUSED_PAD src0_sel:WORD_1 src1_sel:DWORD
	;; [unrolled: 7-line block ×5, first 2 shown]
	v_pack_b32_f16 v7, v7, v16
	v_fmac_f16_e32 v15, v146, v39
	v_mul_f16_sdwa v16, v145, v19 dst_sel:DWORD dst_unused:UNUSED_PAD src0_sel:WORD_1 src1_sel:DWORD
	s_waitcnt vmcnt(7)
	v_lshrrev_b32_e32 v20, 16, v41
	v_mul_f16_sdwa v23, v144, v41 dst_sel:DWORD dst_unused:UNUSED_PAD src0_sel:WORD_1 src1_sel:DWORD
	v_fma_f16 v18, v145, v19, -v18
	v_pack_b32_f16 v15, v15, v17
	v_fmac_f16_e32 v16, v145, v40
	v_mul_f16_sdwa v17, v144, v20 dst_sel:DWORD dst_unused:UNUSED_PAD src0_sel:WORD_1 src1_sel:DWORD
	v_fma_f16 v19, v144, v20, -v23
	s_waitcnt vmcnt(5)
	v_lshrrev_b32_e32 v20, 16, v21
	v_mul_f16_sdwa v23, v143, v21 dst_sel:DWORD dst_unused:UNUSED_PAD src0_sel:WORD_1 src1_sel:DWORD
	ds_write_b32 v139, v15 offset:880
	v_pack_b32_f16 v15, v16, v18
	s_waitcnt vmcnt(1)
	v_mul_f16_sdwa v25, v140, v43 dst_sel:DWORD dst_unused:UNUSED_PAD src0_sel:WORD_1 src1_sel:DWORD
	v_mul_f16_sdwa v16, v143, v20 dst_sel:DWORD dst_unused:UNUSED_PAD src0_sel:WORD_1 src1_sel:DWORD
	v_fma_f16 v18, v143, v20, -v23
	v_lshrrev_b32_e32 v20, 16, v22
	v_mul_f16_sdwa v23, v142, v22 dst_sel:DWORD dst_unused:UNUSED_PAD src0_sel:WORD_1 src1_sel:DWORD
	ds_write2_b32 v1, v2, v15 offset0:184 offset1:239
	v_lshrrev_b32_e32 v2, 16, v42
	v_fmac_f16_e32 v16, v143, v21
	v_lshrrev_b32_e32 v21, 16, v43
	v_mul_f16_sdwa v15, v142, v20 dst_sel:DWORD dst_unused:UNUSED_PAD src0_sel:WORD_1 src1_sel:DWORD
	v_fma_f16 v20, v142, v20, -v23
	s_waitcnt vmcnt(0)
	v_mul_f16_sdwa v23, v141, v42 dst_sel:DWORD dst_unused:UNUSED_PAD src0_sel:WORD_1 src1_sel:DWORD
	v_mul_f16_sdwa v24, v141, v2 dst_sel:DWORD dst_unused:UNUSED_PAD src0_sel:WORD_1 src1_sel:DWORD
	;; [unrolled: 1-line block ×3, first 2 shown]
	v_fmac_f16_e32 v17, v144, v41
	v_fmac_f16_e32 v15, v142, v22
	v_fma_f16 v2, v141, v2, -v23
	v_fmac_f16_e32 v24, v141, v42
	v_fma_f16 v21, v140, v21, -v25
	v_fmac_f16_e32 v26, v140, v43
	v_pack_b32_f16 v17, v17, v19
	v_pack_b32_f16 v16, v16, v18
	;; [unrolled: 1-line block ×5, first 2 shown]
	ds_write2_b32 v46, v4, v17 offset0:75 offset1:130
	ds_write2_b32 v48, v3, v16 offset0:94 offset1:149
	;; [unrolled: 1-line block ×5, first 2 shown]
	s_waitcnt lgkmcnt(0)
	s_barrier
	buffer_gl0_inv
	ds_read2_b32 v[2:3], v1 offset0:74 offset1:129
	ds_read2_b32 v[4:5], v11 offset0:38 offset1:93
	;; [unrolled: 1-line block ×12, first 2 shown]
	v_mul_u32_u24_e32 v34, 7, v71
	v_add_co_ci_u32_e64 v15, null, 0, 0, s0
	v_mul_u32_u24_e32 v15, 7, v72
	v_lshlrev_b32_e32 v112, 2, v34
	ds_read2_b32 v[34:35], v139 offset1:55
	ds_read2_b32 v[36:37], v139 offset0:110 offset1:165
	v_lshlrev_b32_e32 v113, 2, v15
	s_waitcnt lgkmcnt(10)
	v_pk_add_f16 v15, v2, v17
	s_waitcnt lgkmcnt(9)
	v_pk_add_f16 v38, v5, v18
	;; [unrolled: 2-line block ×3, first 2 shown]
	v_pk_add_f16 v2, v2, v17 neg_lo:[0,1] neg_hi:[0,1]
	v_pk_add_f16 v5, v5, v18 neg_lo:[0,1] neg_hi:[0,1]
	;; [unrolled: 1-line block ×3, first 2 shown]
	s_waitcnt lgkmcnt(5)
	v_pk_add_f16 v17, v3, v26
	v_pk_add_f16 v18, v22, v19
	;; [unrolled: 1-line block ×3, first 2 shown]
	v_pk_add_f16 v3, v3, v26 neg_lo:[0,1] neg_hi:[0,1]
	v_pk_add_f16 v19, v22, v19 neg_lo:[0,1] neg_hi:[0,1]
	;; [unrolled: 1-line block ×3, first 2 shown]
	s_waitcnt lgkmcnt(4)
	v_pk_add_f16 v22, v28, v27
	s_waitcnt lgkmcnt(2)
	v_pk_add_f16 v26, v32, v25
	v_pk_add_f16 v27, v28, v27 neg_lo:[0,1] neg_hi:[0,1]
	v_pk_add_f16 v25, v25, v32 neg_lo:[0,1] neg_hi:[0,1]
	v_pk_add_f16 v28, v38, v15
	v_pk_add_f16 v32, v6, v5
	v_pk_add_f16 v40, v2, v6 neg_lo:[0,1] neg_hi:[0,1]
	v_pk_add_f16 v41, v5, v2 neg_lo:[0,1] neg_hi:[0,1]
	;; [unrolled: 1-line block ×3, first 2 shown]
	v_pk_add_f16 v6, v18, v17
	v_pk_add_f16 v24, v23, v30
	v_pk_add_f16 v23, v23, v30 neg_lo:[0,1] neg_hi:[0,1]
	v_pk_add_f16 v30, v38, v15 neg_lo:[0,1] neg_hi:[0,1]
	;; [unrolled: 1-line block ×8, first 2 shown]
	v_pk_add_f16 v28, v39, v28
	v_pk_add_f16 v2, v32, v2
	v_pk_mul_f16 v32, 0x3574, v40 op_sel_hi:[0,1]
	v_pk_mul_f16 v39, 0x3b00, v41 op_sel_hi:[0,1]
	v_pk_add_f16 v6, v21, v6
	v_pk_add_f16 v43, v7, v19
	v_pk_add_f16 v18, v21, v18 neg_lo:[0,1] neg_hi:[0,1]
	v_pk_add_f16 v7, v7, v19 neg_lo:[0,1] neg_hi:[0,1]
	;; [unrolled: 1-line block ×3, first 2 shown]
	v_pk_mul_f16 v15, 0x3a52, v15 op_sel_hi:[0,1]
	v_pk_mul_f16 v30, 0x39e0, v30 op_sel_hi:[0,1]
	;; [unrolled: 1-line block ×6, first 2 shown]
	s_waitcnt lgkmcnt(1)
	v_pk_add_f16 v35, v35, v28
	v_pk_fma_f16 v40, 0x3574, v40, v39 op_sel_hi:[0,1,1] neg_lo:[0,1,1] neg_hi:[0,1,1]
	v_pk_fma_f16 v39, 0xb846, v5, v39 op_sel_hi:[0,1,1] neg_lo:[0,1,0] neg_hi:[0,1,0]
	v_pk_fma_f16 v5, 0xb846, v5, v32 op_sel_hi:[0,1,1]
	s_waitcnt lgkmcnt(0)
	v_pk_add_f16 v32, v36, v6
	v_pk_add_f16 v19, v24, v22
	;; [unrolled: 1-line block ×3, first 2 shown]
	v_pk_mul_f16 v43, 0x39e0, v46 op_sel_hi:[0,1]
	v_pk_add_f16 v46, v15, v30 op_sel:[1,1] op_sel_hi:[0,0] neg_lo:[1,1] neg_hi:[1,1]
	v_pk_fma_f16 v30, 0x2b26, v38, v30 op_sel_hi:[0,1,1] neg_lo:[0,1,0] neg_hi:[0,1,0]
	v_pk_fma_f16 v15, 0x2b26, v38, v15 op_sel_hi:[0,1,1]
	v_pk_add_f16 v36, v17, v21 op_sel:[1,1] op_sel_hi:[0,0] neg_lo:[1,1] neg_hi:[1,1]
	v_pk_fma_f16 v38, 0x3574, v44, v42 op_sel_hi:[0,1,1] neg_lo:[0,1,1] neg_hi:[0,1,1]
	v_pk_fma_f16 v21, 0x2b26, v18, v21 op_sel_hi:[0,1,1] neg_lo:[0,1,0] neg_hi:[0,1,0]
	;; [unrolled: 1-line block ×3, first 2 shown]
	v_pk_fma_f16 v17, 0x2b26, v18, v17 op_sel_hi:[0,1,1]
	v_pk_fma_f16 v7, 0xb846, v7, v41 op_sel_hi:[0,1,1]
	v_pk_fma_f16 v18, 0x3cab, v28, v35 op_sel_hi:[0,1,1] neg_lo:[0,1,0] neg_hi:[0,1,0]
	v_pk_fma_f16 v28, 0x370e, v2, v40 op_sel_hi:[0,1,1]
	v_pk_fma_f16 v39, 0x370e, v2, v39 op_sel_hi:[0,1,1]
	;; [unrolled: 1-line block ×3, first 2 shown]
	v_pk_fma_f16 v5, 0x3cab, v6, v32 op_sel_hi:[0,1,1] neg_lo:[0,1,0] neg_hi:[0,1,0]
	v_pk_add_f16 v22, v22, v26 neg_lo:[0,1] neg_hi:[0,1]
	v_pk_add_f16 v49, v23, v27 neg_lo:[0,1] neg_hi:[0,1]
	v_pk_add_f16 v19, v26, v19
	v_pk_fma_f16 v6, 0x370e, v3, v38 op_sel_hi:[0,1,1]
	v_pk_fma_f16 v38, 0x370e, v3, v42 op_sel_hi:[0,1,1]
	;; [unrolled: 1-line block ×3, first 2 shown]
	v_pk_add_f16 v3, v46, v18 op_sel:[0,1] op_sel_hi:[1,0]
	v_pk_add_f16 v30, v30, v18
	v_pk_add_f16 v15, v15, v18
	v_pk_add_f16 v18, v36, v5 op_sel:[0,1] op_sel_hi:[1,0]
	v_pk_add_f16 v21, v21, v5
	v_pk_add_f16 v47, v25, v23
	v_pk_add_f16 v48, v27, v25 neg_lo:[0,1] neg_hi:[0,1]
	v_pk_mul_f16 v22, 0x3a52, v22 op_sel_hi:[0,1]
	v_pk_mul_f16 v45, 0x3b00, v49 op_sel_hi:[0,1]
	v_pk_add_f16 v37, v37, v19
	v_pk_add_f16 v36, v17, v5
	;; [unrolled: 1-line block ×3, first 2 shown]
	v_pk_add_f16 v3, v3, v28 neg_lo:[0,1] neg_hi:[0,1]
	v_pk_add_f16 v17, v30, v39 op_sel:[0,1] op_sel_hi:[1,0] neg_lo:[0,1] neg_hi:[0,1]
	v_pk_add_f16 v28, v30, v39 op_sel:[0,1] op_sel_hi:[1,0]
	v_pk_add_f16 v30, v15, v2 op_sel:[0,1] op_sel_hi:[1,0]
	v_pk_add_f16 v39, v15, v2 op_sel:[0,1] op_sel_hi:[1,0] neg_lo:[0,1] neg_hi:[0,1]
	v_pk_add_f16 v2, v18, v6
	v_pk_add_f16 v6, v18, v6 neg_lo:[0,1] neg_hi:[0,1]
	v_pk_add_f16 v15, v21, v38 op_sel:[0,1] op_sel_hi:[1,0] neg_lo:[0,1] neg_hi:[0,1]
	v_pk_add_f16 v18, v21, v38 op_sel:[0,1] op_sel_hi:[1,0]
	v_pk_add_f16 v27, v47, v27
	v_alignbit_b32 v38, v3, v5, 16
	v_alignbit_b32 v41, v5, v3, 16
	;; [unrolled: 1-line block ×4, first 2 shown]
	v_pk_fma_f16 v19, 0x3cab, v19, v37 op_sel_hi:[0,1,1] neg_lo:[0,1,0] neg_hi:[0,1,0]
	v_pk_add_f16 v2, v22, v43 op_sel:[1,1] op_sel_hi:[0,0] neg_lo:[1,1] neg_hi:[1,1]
	v_pk_fma_f16 v3, 0x3574, v48, v45 op_sel_hi:[0,1,1] neg_lo:[0,1,1] neg_hi:[0,1,1]
	v_bfi_b32 v46, 0xffff, v15, v18
	v_bfi_b32 v47, 0xffff, v18, v15
	v_add_nc_u32_e32 v15, 0x200, v139
	v_bfi_b32 v40, 0xffff, v17, v28
	v_bfi_b32 v28, 0xffff, v28, v17
	v_pk_add_f16 v24, v26, v24 neg_lo:[0,1] neg_hi:[0,1]
	v_pk_add_f16 v23, v25, v23 neg_lo:[0,1] neg_hi:[0,1]
	v_pk_add_f16 v25, v2, v19 op_sel:[0,1] op_sel_hi:[1,0]
	v_pk_fma_f16 v26, 0x370e, v27, v3 op_sel_hi:[0,1,1]
	ds_read_b32 v50, v139 offset:7480
	ds_read2_b32 v[2:3], v13 offset0:2 offset1:57
	ds_read2_b32 v[5:6], v15 offset0:92 offset1:147
	;; [unrolled: 1-line block ×3, first 2 shown]
	v_pk_fma_f16 v43, 0x2b26, v24, v43 op_sel_hi:[0,1,1] neg_lo:[0,1,0] neg_hi:[0,1,0]
	v_pk_fma_f16 v45, 0xb846, v23, v45 op_sel_hi:[0,1,1] neg_lo:[0,1,0] neg_hi:[0,1,0]
	v_pk_mul_f16 v48, 0x3574, v48 op_sel_hi:[0,1]
	v_pk_add_f16 v51, v25, v26
	v_pk_add_f16 v25, v25, v26 neg_lo:[0,1] neg_hi:[0,1]
	v_pk_add_f16 v43, v43, v19
	v_pk_fma_f16 v45, 0x370e, v27, v45 op_sel_hi:[0,1,1]
	v_pk_fma_f16 v22, 0x2b26, v24, v22 op_sel_hi:[0,1,1]
	;; [unrolled: 1-line block ×3, first 2 shown]
	v_pk_add_f16 v21, v36, v7 op_sel:[0,1] op_sel_hi:[1,0]
	v_pk_add_f16 v7, v36, v7 op_sel:[0,1] op_sel_hi:[1,0] neg_lo:[0,1] neg_hi:[0,1]
	v_pk_add_f16 v24, v43, v45 op_sel:[0,1] op_sel_hi:[1,0] neg_lo:[0,1] neg_hi:[0,1]
	v_pk_add_f16 v26, v43, v45 op_sel:[0,1] op_sel_hi:[1,0]
	s_waitcnt lgkmcnt(0)
	s_barrier
	buffer_gl0_inv
	v_bfi_b32 v42, 0xffff, v39, v30
	v_pk_add_f16 v52, v3, v20
	v_pk_add_f16 v45, v6, v16
	;; [unrolled: 1-line block ×3, first 2 shown]
	v_pk_add_f16 v4, v4, v18 neg_lo:[0,1] neg_hi:[0,1]
	v_pk_add_f16 v3, v20, v3 neg_lo:[0,1] neg_hi:[0,1]
	v_mul_u32_u24_e32 v18, 7, v70
	v_pk_add_f16 v6, v6, v16 neg_lo:[0,1] neg_hi:[0,1]
	v_pk_add_f16 v53, v48, v45
	v_pk_add_f16 v19, v22, v19
	;; [unrolled: 1-line block ×3, first 2 shown]
	v_lshlrev_b32_e32 v114, 2, v18
	v_pk_add_f16 v55, v6, v3 neg_lo:[0,1] neg_hi:[0,1]
	v_pk_add_f16 v53, v52, v53
	v_pk_add_f16 v3, v3, v4 neg_lo:[0,1] neg_hi:[0,1]
	v_pk_add_f16 v16, v16, v6
	v_pk_add_f16 v6, v4, v6 neg_lo:[0,1] neg_hi:[0,1]
	v_pk_fma_f16 v22, 0x370e, v27, v23 op_sel_hi:[0,1,1]
	v_pk_add_f16 v18, v34, v53
	v_pk_add_f16 v34, v45, v52 neg_lo:[0,1] neg_hi:[0,1]
	v_pk_add_f16 v45, v48, v45 neg_lo:[0,1] neg_hi:[0,1]
	;; [unrolled: 1-line block ×3, first 2 shown]
	v_pk_mul_f16 v6, 0x3b00, v6 op_sel_hi:[0,1]
	v_pk_mul_f16 v52, 0x3574, v55 op_sel_hi:[0,1]
	;; [unrolled: 1-line block ×4, first 2 shown]
	v_pk_fma_f16 v53, 0x3cab, v53, v18 op_sel_hi:[0,1,1] neg_lo:[0,1,0] neg_hi:[0,1,0]
	v_pk_fma_f16 v55, 0x3574, v55, v6 op_sel_hi:[0,1,1] neg_lo:[0,1,1] neg_hi:[0,1,1]
	;; [unrolled: 1-line block ×3, first 2 shown]
	v_pk_fma_f16 v3, 0xb846, v3, v52 op_sel_hi:[0,1,1]
	v_pk_add_f16 v4, v34, v45 op_sel:[1,1] op_sel_hi:[0,0] neg_lo:[1,1] neg_hi:[1,1]
	v_pk_fma_f16 v45, 0x2b26, v48, v45 op_sel_hi:[0,1,1] neg_lo:[0,1,0] neg_hi:[0,1,0]
	v_pk_fma_f16 v34, 0x2b26, v48, v34 op_sel_hi:[0,1,1]
	v_mul_u32_u24_e32 v48, 7, v76
	v_pk_fma_f16 v6, 0x370e, v16, v6 op_sel_hi:[0,1,1]
	v_pk_add_f16 v4, v4, v53 op_sel:[0,1] op_sel_hi:[1,0]
	v_pk_add_f16 v45, v45, v53
	v_pk_add_f16 v34, v34, v53
	v_lshlrev_b32_e32 v116, 2, v48
	v_pk_fma_f16 v48, 0x370e, v16, v55 op_sel_hi:[0,1,1]
	v_pk_fma_f16 v3, 0x370e, v16, v3 op_sel_hi:[0,1,1]
	v_pk_add_f16 v16, v45, v6 op_sel:[0,1] op_sel_hi:[1,0] neg_lo:[0,1] neg_hi:[0,1]
	v_pk_add_f16 v6, v45, v6 op_sel:[0,1] op_sel_hi:[1,0]
	v_pk_add_f16 v36, v29, v50
	v_pk_add_f16 v53, v4, v48
	v_pk_add_f16 v4, v4, v48 neg_lo:[0,1] neg_hi:[0,1]
	v_pk_add_f16 v45, v34, v3 op_sel:[0,1] op_sel_hi:[1,0]
	v_pk_add_f16 v3, v34, v3 op_sel:[0,1] op_sel_hi:[1,0] neg_lo:[0,1] neg_hi:[0,1]
	v_bfi_b32 v48, 0xffff, v16, v6
	v_bfi_b32 v6, 0xffff, v6, v16
	v_alignbit_b32 v34, v4, v53, 16
	v_alignbit_b32 v4, v53, v4, 16
	v_bfi_b32 v16, 0xffff, v45, v3
	v_bfi_b32 v3, 0xffff, v3, v45
	ds_write2_b32 v115, v34, v48 offset0:2 offset1:3
	ds_write2_b32 v115, v6, v4 offset0:4 offset1:5
	ds_write2_b32 v115, v18, v16 offset1:1
	v_bfi_b32 v4, 0xffff, v30, v39
	v_pk_add_f16 v43, v2, v31
	ds_write_b32 v115, v3 offset:24
	ds_write2_b32 v113, v38, v40 offset0:2 offset1:3
	ds_write2_b32 v113, v28, v41 offset0:4 offset1:5
	v_bfi_b32 v3, 0xffff, v21, v7
	v_alignbit_b32 v23, v25, v51, 16
	v_bfi_b32 v27, 0xffff, v24, v26
	v_bfi_b32 v24, 0xffff, v26, v24
	v_alignbit_b32 v25, v51, v25, 16
	v_bfi_b32 v20, 0xffff, v7, v21
	ds_write2_b32 v113, v35, v4 offset1:1
	ds_write_b32 v113, v42 offset:24
	ds_write2_b32 v112, v44, v46 offset0:2 offset1:3
	ds_write2_b32 v112, v47, v49 offset0:4 offset1:5
	ds_write2_b32 v112, v32, v3 offset1:1
	ds_write_b32 v112, v20 offset:24
	ds_write2_b32 v114, v23, v27 offset0:2 offset1:3
	ds_write2_b32 v114, v24, v25 offset0:4 offset1:5
	v_pk_add_f16 v2, v2, v31 neg_lo:[0,1] neg_hi:[0,1]
	v_pk_add_f16 v3, v17, v33 neg_lo:[0,1] neg_hi:[0,1]
	;; [unrolled: 1-line block ×3, first 2 shown]
	v_pk_add_f16 v26, v19, v22 op_sel:[0,1] op_sel_hi:[1,0]
	v_pk_add_f16 v19, v19, v22 op_sel:[0,1] op_sel_hi:[1,0] neg_lo:[0,1] neg_hi:[0,1]
	v_pk_add_f16 v22, v33, v17
	v_pk_add_f16 v51, v43, v36
	;; [unrolled: 1-line block ×3, first 2 shown]
	v_pk_add_f16 v18, v2, v4 neg_lo:[0,1] neg_hi:[0,1]
	v_pk_add_f16 v7, v43, v36 neg_lo:[0,1] neg_hi:[0,1]
	v_pk_add_f16 v6, v36, v22 neg_lo:[0,1] neg_hi:[0,1]
	v_pk_add_f16 v51, v22, v51
	v_bfi_b32 v52, 0xffff, v19, v26
	v_bfi_b32 v16, 0xffff, v26, v19
	v_pk_add_f16 v19, v4, v3 neg_lo:[0,1] neg_hi:[0,1]
	v_pk_add_f16 v4, v17, v4
	v_pk_mul_f16 v17, 0x3b00, v18 op_sel_hi:[0,1]
	v_pk_add_f16 v5, v5, v51
	v_pk_mul_f16 v6, 0x3a52, v6 op_sel_hi:[0,1]
	v_pk_mul_f16 v7, 0x39e0, v7 op_sel_hi:[0,1]
	v_pk_add_f16 v21, v22, v43 neg_lo:[0,1] neg_hi:[0,1]
	v_pk_add_f16 v2, v3, v2 neg_lo:[0,1] neg_hi:[0,1]
	v_pk_fma_f16 v3, 0x3574, v19, v17 op_sel_hi:[0,1,1] neg_lo:[0,1,1] neg_hi:[0,1,1]
	v_pk_mul_f16 v19, 0x3574, v19 op_sel_hi:[0,1]
	v_pk_fma_f16 v18, 0x3cab, v51, v5 op_sel_hi:[0,1,1] neg_lo:[0,1,0] neg_hi:[0,1,0]
	v_pk_add_f16 v20, v6, v7 op_sel:[1,1] op_sel_hi:[0,0] neg_lo:[1,1] neg_hi:[1,1]
	v_pk_fma_f16 v7, 0x2b26, v21, v7 op_sel_hi:[0,1,1] neg_lo:[0,1,0] neg_hi:[0,1,0]
	v_pk_fma_f16 v17, 0xb846, v2, v17 op_sel_hi:[0,1,1] neg_lo:[0,1,0] neg_hi:[0,1,0]
	v_pk_fma_f16 v6, 0x2b26, v21, v6 op_sel_hi:[0,1,1]
	v_pk_fma_f16 v2, 0xb846, v2, v19 op_sel_hi:[0,1,1]
	v_pk_add_f16 v20, v20, v18 op_sel:[0,1] op_sel_hi:[1,0]
	v_pk_fma_f16 v3, 0x370e, v4, v3 op_sel_hi:[0,1,1]
	v_pk_add_f16 v7, v7, v18
	v_pk_fma_f16 v17, 0x370e, v4, v17 op_sel_hi:[0,1,1]
	v_pk_add_f16 v6, v6, v18
	;; [unrolled: 2-line block ×3, first 2 shown]
	v_pk_add_f16 v20, v20, v3 neg_lo:[0,1] neg_hi:[0,1]
	v_pk_add_f16 v3, v7, v17 op_sel:[0,1] op_sel_hi:[1,0] neg_lo:[0,1] neg_hi:[0,1]
	v_pk_add_f16 v4, v7, v17 op_sel:[0,1] op_sel_hi:[1,0]
	v_pk_add_f16 v21, v6, v2 op_sel:[0,1] op_sel_hi:[1,0]
	v_pk_add_f16 v33, v6, v2 op_sel:[0,1] op_sel_hi:[1,0] neg_lo:[0,1] neg_hi:[0,1]
	v_alignbit_b32 v2, v20, v55, 16
	ds_write2_b32 v114, v37, v16 offset1:1
	v_bfi_b32 v6, 0xffff, v3, v4
	v_bfi_b32 v3, 0xffff, v4, v3
	v_alignbit_b32 v4, v55, v20, 16
	v_bfi_b32 v7, 0xffff, v21, v33
	v_bfi_b32 v16, 0xffff, v33, v21
	ds_write_b32 v114, v52 offset:24
	ds_write2_b32 v116, v2, v6 offset0:2 offset1:3
	ds_write2_b32 v116, v3, v4 offset0:4 offset1:5
	ds_write2_b32 v116, v5, v7 offset1:1
	ds_write_b32 v116, v16 offset:24
	v_add_nc_u32_e32 v2, 0x600, v139
	s_waitcnt lgkmcnt(0)
	s_barrier
	buffer_gl0_inv
	ds_read2_b32 v[36:37], v139 offset1:55
	ds_read2_b32 v[34:35], v139 offset0:110 offset1:175
	ds_read2_b32 v[18:19], v1 offset0:94 offset1:149
	ds_read2_b32 v[2:3], v2 offset0:76 offset1:141
	ds_read2_b32 v[16:17], v11 offset0:188 offset1:243
	v_add_nc_u32_e32 v1, 0x1600, v139
	ds_read2_b32 v[6:7], v13 offset0:42 offset1:107
	ds_read2_b32 v[52:53], v0 offset0:26 offset1:81
	;; [unrolled: 1-line block ×9, first 2 shown]
	ds_read2_b32 v[46:47], v12 offset1:55
	ds_read2_b32 v[42:43], v9 offset0:94 offset1:149
	ds_read_b32 v56, v139 offset:7440
	v_lshrrev_b32_e32 v32, 16, v20
	v_lshrrev_b32_e32 v57, 16, v21
                                        ; implicit-def: $vgpr38
                                        ; implicit-def: $vgpr40
                                        ; implicit-def: $vgpr51
                                        ; implicit-def: $vgpr45
	s_and_saveexec_b32 s0, vcc_lo
	s_cbranch_execz .LBB0_3
; %bb.2:
	v_add_nc_u32_e32 v8, 0xd00, v139
	ds_read2_b32 v[32:33], v15 offset0:37 offset1:212
	ds_read2_b32 v[44:45], v11 offset0:3 offset1:178
	;; [unrolled: 1-line block ×5, first 2 shown]
	ds_read_b32 v67, v139 offset:7660
	s_waitcnt lgkmcnt(5)
	v_lshrrev_b32_e32 v55, 16, v32
	v_lshrrev_b32_e32 v57, 16, v33
	s_waitcnt lgkmcnt(4)
	v_lshrrev_b32_e32 v188, 16, v44
	v_lshrrev_b32_e32 v138, 16, v45
	;; [unrolled: 3-line block ×5, first 2 shown]
	s_waitcnt lgkmcnt(0)
	v_lshrrev_b32_e32 v110, 16, v67
.LBB0_3:
	s_or_b32 exec_lo, exec_lo, s0
	v_and_b32_e32 v12, 0xff, v172
	s_waitcnt lgkmcnt(15)
	v_lshrrev_b32_e32 v8, 16, v35
	s_waitcnt lgkmcnt(14)
	v_lshrrev_b32_e32 v9, 16, v18
	s_waitcnt lgkmcnt(13)
	v_lshrrev_b32_e32 v10, 16, v3
	s_waitcnt lgkmcnt(12)
	v_lshrrev_b32_e32 v11, 16, v16
	v_mul_lo_u16 v12, v12, 37
	s_waitcnt lgkmcnt(11)
	v_lshrrev_b32_e32 v20, 16, v7
	s_waitcnt lgkmcnt(10)
	v_lshrrev_b32_e32 v21, 16, v52
	;; [unrolled: 2-line block ×4, first 2 shown]
	v_lshrrev_b16 v12, 8, v12
	s_waitcnt lgkmcnt(7)
	v_lshrrev_b32_e32 v62, 16, v1
	s_waitcnt lgkmcnt(6)
	v_lshrrev_b32_e32 v63, 16, v28
	;; [unrolled: 2-line block ×3, first 2 shown]
	v_lshrrev_b32_e32 v95, 16, v19
	v_sub_nc_u16 v13, v172, v12
	s_waitcnt lgkmcnt(4)
	v_lshrrev_b32_e32 v96, 16, v24
	v_lshrrev_b32_e32 v102, 16, v17
	s_waitcnt lgkmcnt(3)
	v_lshrrev_b32_e32 v104, 16, v48
	s_waitcnt lgkmcnt(1)
	v_lshrrev_b32_e32 v61, 16, v42
	v_lshrrev_b16 v13, 1, v13
	v_lshrrev_b32_e32 v121, 16, v53
	v_lshrrev_b32_e32 v60, 16, v29
	;; [unrolled: 1-line block ×4, first 2 shown]
	v_and_b32_e32 v13, 0x7f, v13
	v_lshrrev_b32_e32 v101, 16, v27
	v_lshrrev_b32_e32 v100, 16, v2
	;; [unrolled: 1-line block ×4, first 2 shown]
	v_add_nc_u16 v12, v13, v12
	v_lshrrev_b32_e32 v99, 16, v49
	v_lshrrev_b32_e32 v103, 16, v4
	;; [unrolled: 1-line block ×4, first 2 shown]
	v_lshrrev_b16 v64, 2, v12
	v_lshrrev_b32_e32 v59, 16, v43
	s_waitcnt lgkmcnt(0)
	v_lshrrev_b32_e32 v58, 16, v56
	v_mul_lo_u16 v12, v64, 7
	v_sub_nc_u16 v12, v172, v12
	v_and_b32_e32 v65, 0xff, v12
	v_mul_u32_u24_e32 v12, 10, v65
	v_lshlrev_b32_e32 v86, 2, v12
	s_clause 0x1
	global_load_dwordx4 v[12:15], v86, s[10:11]
	global_load_dwordx2 v[91:92], v86, s[10:11] offset:32
	s_waitcnt vmcnt(1)
	v_mul_f16_sdwa v108, v35, v12 dst_sel:DWORD dst_unused:UNUSED_PAD src0_sel:DWORD src1_sel:WORD_1
	v_mul_f16_sdwa v66, v8, v12 dst_sel:DWORD dst_unused:UNUSED_PAD src0_sel:DWORD src1_sel:WORD_1
	;; [unrolled: 1-line block ×5, first 2 shown]
	v_fmac_f16_e32 v108, v8, v12
	v_mul_f16_sdwa v8, v9, v13 dst_sel:DWORD dst_unused:UNUSED_PAD src0_sel:DWORD src1_sel:WORD_1
	v_fmac_f16_e32 v85, v9, v13
	v_fmac_f16_e32 v81, v10, v14
	;; [unrolled: 1-line block ×3, first 2 shown]
	v_fma_f16 v189, v35, v12, -v66
	v_fma_f16 v84, v18, v13, -v8
	v_mul_f16_sdwa v8, v10, v14 dst_sel:DWORD dst_unused:UNUSED_PAD src0_sel:DWORD src1_sel:WORD_1
	s_waitcnt vmcnt(0)
	v_mul_f16_sdwa v107, v1, v91 dst_sel:DWORD dst_unused:UNUSED_PAD src0_sel:DWORD src1_sel:WORD_1
	v_mul_f16_sdwa v109, v28, v92 dst_sel:DWORD dst_unused:UNUSED_PAD src0_sel:DWORD src1_sel:WORD_1
	v_fma_f16 v80, v3, v14, -v8
	v_mul_f16_sdwa v3, v11, v15 dst_sel:DWORD dst_unused:UNUSED_PAD src0_sel:DWORD src1_sel:WORD_1
	global_load_dwordx4 v[8:11], v86, s[10:11] offset:16
	v_fmac_f16_e32 v107, v62, v91
	v_fmac_f16_e32 v109, v63, v92
	v_fma_f16 v75, v16, v15, -v3
	s_waitcnt vmcnt(0)
	v_mul_f16_sdwa v3, v20, v8 dst_sel:DWORD dst_unused:UNUSED_PAD src0_sel:DWORD src1_sel:WORD_1
	v_mul_f16_sdwa v69, v7, v8 dst_sel:DWORD dst_unused:UNUSED_PAD src0_sel:DWORD src1_sel:WORD_1
	;; [unrolled: 1-line block ×5, first 2 shown]
	v_fma_f16 v66, v7, v8, -v3
	v_mul_f16_sdwa v3, v21, v9 dst_sel:DWORD dst_unused:UNUSED_PAD src0_sel:DWORD src1_sel:WORD_1
	v_fmac_f16_e32 v69, v20, v8
	v_fmac_f16_e32 v74, v21, v9
	;; [unrolled: 1-line block ×4, first 2 shown]
	v_fma_f16 v73, v52, v9, -v3
	v_mul_f16_sdwa v3, v22, v10 dst_sel:DWORD dst_unused:UNUSED_PAD src0_sel:DWORD src1_sel:WORD_1
	v_fma_f16 v78, v5, v10, -v3
	v_mul_f16_sdwa v3, v23, v11 dst_sel:DWORD dst_unused:UNUSED_PAD src0_sel:DWORD src1_sel:WORD_1
	;; [unrolled: 2-line block ×4, first 2 shown]
	v_fma_f16 v190, v28, v92, -v1
	v_and_b32_e32 v1, 0xff, v72
	v_mul_lo_u16 v1, v1, 37
	v_lshrrev_b16 v1, 8, v1
	v_sub_nc_u16 v3, v72, v1
	v_lshrrev_b16 v3, 1, v3
	v_and_b32_e32 v3, 0x7f, v3
	v_add_nc_u16 v1, v3, v1
	v_lshrrev_b16 v62, 2, v1
	v_mul_lo_u16 v1, v62, 7
	v_sub_nc_u16 v1, v72, v1
	v_and_b32_e32 v63, 0xff, v1
	v_mul_u32_u24_e32 v1, 10, v63
	v_lshlrev_b32_e32 v1, 2, v1
	global_load_dwordx4 v[20:23], v1, s[10:11]
	s_waitcnt vmcnt(0)
	v_mul_f16_sdwa v3, v87, v20 dst_sel:DWORD dst_unused:UNUSED_PAD src0_sel:DWORD src1_sel:WORD_1
	v_mul_f16_sdwa v131, v19, v21 dst_sel:DWORD dst_unused:UNUSED_PAD src0_sel:DWORD src1_sel:WORD_1
	;; [unrolled: 1-line block ×5, first 2 shown]
	v_fma_f16 v136, v26, v20, -v3
	v_mul_f16_sdwa v3, v95, v21 dst_sel:DWORD dst_unused:UNUSED_PAD src0_sel:DWORD src1_sel:WORD_1
	v_fmac_f16_e32 v131, v95, v21
	v_fmac_f16_e32 v127, v96, v22
	;; [unrolled: 1-line block ×4, first 2 shown]
	v_fma_f16 v130, v19, v21, -v3
	v_mul_f16_sdwa v3, v96, v22 dst_sel:DWORD dst_unused:UNUSED_PAD src0_sel:DWORD src1_sel:WORD_1
	global_load_dwordx2 v[95:96], v1, s[10:11] offset:32
	v_fma_f16 v126, v24, v22, -v3
	v_mul_f16_sdwa v3, v102, v23 dst_sel:DWORD dst_unused:UNUSED_PAD src0_sel:DWORD src1_sel:WORD_1
	v_fma_f16 v119, v17, v23, -v3
	global_load_dwordx4 v[16:19], v1, s[10:11] offset:16
	s_waitcnt vmcnt(1)
	v_mul_f16_sdwa v1, v61, v95 dst_sel:DWORD dst_unused:UNUSED_PAD src0_sel:DWORD src1_sel:WORD_1
	v_mul_f16_sdwa v133, v42, v95 dst_sel:DWORD dst_unused:UNUSED_PAD src0_sel:DWORD src1_sel:WORD_1
	;; [unrolled: 1-line block ×3, first 2 shown]
	v_fma_f16 v132, v42, v95, -v1
	v_mul_f16_sdwa v1, v60, v96 dst_sel:DWORD dst_unused:UNUSED_PAD src0_sel:DWORD src1_sel:WORD_1
	v_and_b32_e32 v42, 0xff, v71
	v_fmac_f16_e32 v135, v60, v96
	v_fmac_f16_e32 v133, v61, v95
	s_waitcnt vmcnt(0)
	v_mul_f16_sdwa v3, v104, v16 dst_sel:DWORD dst_unused:UNUSED_PAD src0_sel:DWORD src1_sel:WORD_1
	v_mul_f16_sdwa v118, v53, v17 dst_sel:DWORD dst_unused:UNUSED_PAD src0_sel:DWORD src1_sel:WORD_1
	v_fma_f16 v187, v29, v96, -v1
	v_mul_lo_u16 v1, v42, 37
	v_mul_f16_sdwa v129, v31, v19 dst_sel:DWORD dst_unused:UNUSED_PAD src0_sel:DWORD src1_sel:WORD_1
	v_fma_f16 v87, v48, v16, -v3
	v_mul_f16_sdwa v3, v121, v17 dst_sel:DWORD dst_unused:UNUSED_PAD src0_sel:DWORD src1_sel:WORD_1
	v_fmac_f16_e32 v118, v121, v17
	v_lshrrev_b16 v1, 8, v1
	v_mul_f16_sdwa v125, v46, v18 dst_sel:DWORD dst_unused:UNUSED_PAD src0_sel:DWORD src1_sel:WORD_1
	v_fmac_f16_e32 v129, v123, v19
	v_fma_f16 v106, v53, v17, -v3
	v_mul_f16_sdwa v3, v122, v18 dst_sel:DWORD dst_unused:UNUSED_PAD src0_sel:DWORD src1_sel:WORD_1
	v_mul_f16_sdwa v105, v48, v16 dst_sel:DWORD dst_unused:UNUSED_PAD src0_sel:DWORD src1_sel:WORD_1
	v_fmac_f16_e32 v125, v122, v18
	v_fma_f16 v121, v46, v18, -v3
	v_mul_f16_sdwa v3, v123, v19 dst_sel:DWORD dst_unused:UNUSED_PAD src0_sel:DWORD src1_sel:WORD_1
	v_fmac_f16_e32 v105, v104, v16
	v_fma_f16 v128, v31, v19, -v3
	v_sub_nc_u16 v3, v71, v1
	v_lshrrev_b16 v3, 1, v3
	v_and_b32_e32 v3, 0x7f, v3
	v_add_nc_u16 v1, v3, v1
	v_lshrrev_b16 v60, 2, v1
	v_mul_lo_u16 v1, v60, 7
	v_sub_nc_u16 v1, v71, v1
	v_and_b32_e32 v61, 0xff, v1
	v_mul_u32_u24_e32 v1, 10, v61
	v_lshlrev_b32_e32 v1, 2, v1
	global_load_dwordx4 v[28:31], v1, s[10:11]
	s_waitcnt vmcnt(0)
	v_mul_f16_sdwa v3, v101, v28 dst_sel:DWORD dst_unused:UNUSED_PAD src0_sel:DWORD src1_sel:WORD_1
	v_mul_f16_sdwa v180, v2, v29 dst_sel:DWORD dst_unused:UNUSED_PAD src0_sel:DWORD src1_sel:WORD_1
	;; [unrolled: 1-line block ×5, first 2 shown]
	v_fma_f16 v185, v27, v28, -v3
	v_mul_f16_sdwa v3, v100, v29 dst_sel:DWORD dst_unused:UNUSED_PAD src0_sel:DWORD src1_sel:WORD_1
	v_fmac_f16_e32 v183, v101, v28
	v_fmac_f16_e32 v123, v98, v30
	;; [unrolled: 1-line block ×4, first 2 shown]
	v_fma_f16 v179, v2, v29, -v3
	v_mul_f16_sdwa v2, v98, v30 dst_sel:DWORD dst_unused:UNUSED_PAD src0_sel:DWORD src1_sel:WORD_1
	v_fma_f16 v122, v25, v30, -v2
	global_load_dwordx4 v[24:27], v1, s[10:11] offset:16
	v_mul_f16_sdwa v2, v97, v31 dst_sel:DWORD dst_unused:UNUSED_PAD src0_sel:DWORD src1_sel:WORD_1
	v_fma_f16 v101, v6, v31, -v2
	s_waitcnt vmcnt(0)
	v_mul_f16_sdwa v2, v99, v24 dst_sel:DWORD dst_unused:UNUSED_PAD src0_sel:DWORD src1_sel:WORD_1
	v_mul_f16_sdwa v98, v49, v24 dst_sel:DWORD dst_unused:UNUSED_PAD src0_sel:DWORD src1_sel:WORD_1
	;; [unrolled: 1-line block ×5, first 2 shown]
	v_fma_f16 v97, v49, v24, -v2
	v_mul_f16_sdwa v2, v103, v25 dst_sel:DWORD dst_unused:UNUSED_PAD src0_sel:DWORD src1_sel:WORD_1
	v_fmac_f16_e32 v98, v99, v24
	v_fmac_f16_e32 v100, v103, v25
	;; [unrolled: 1-line block ×4, first 2 shown]
	v_fma_f16 v99, v4, v25, -v2
	v_mul_f16_sdwa v2, v94, v26 dst_sel:DWORD dst_unused:UNUSED_PAD src0_sel:DWORD src1_sel:WORD_1
	v_fma_f16 v103, v47, v26, -v2
	v_mul_f16_sdwa v2, v93, v27 dst_sel:DWORD dst_unused:UNUSED_PAD src0_sel:DWORD src1_sel:WORD_1
	global_load_dwordx2 v[93:94], v1, s[10:11] offset:32
	v_fma_f16 v124, v0, v27, -v2
	s_waitcnt vmcnt(0)
	v_mul_f16_sdwa v0, v59, v93 dst_sel:DWORD dst_unused:UNUSED_PAD src0_sel:DWORD src1_sel:WORD_1
	v_mul_f16_sdwa v182, v43, v93 dst_sel:DWORD dst_unused:UNUSED_PAD src0_sel:DWORD src1_sel:WORD_1
	;; [unrolled: 1-line block ×3, first 2 shown]
	v_fma_f16 v181, v43, v93, -v0
	v_mul_f16_sdwa v0, v58, v94 dst_sel:DWORD dst_unused:UNUSED_PAD src0_sel:DWORD src1_sel:WORD_1
	v_and_b32_e32 v43, 0xff, v70
	v_fmac_f16_e32 v182, v59, v93
	v_fmac_f16_e32 v184, v58, v94
	v_fma_f16 v186, v56, v94, -v0
	v_mul_lo_u16 v0, v43, 37
	v_lshrrev_b16 v0, 8, v0
	v_sub_nc_u16 v1, v70, v0
	v_lshrrev_b16 v1, 1, v1
	v_and_b32_e32 v1, 0x7f, v1
	v_add_nc_u16 v0, v1, v0
	v_lshrrev_b16 v177, 2, v0
	v_mul_lo_u16 v0, v177, 7
	v_sub_nc_u16 v0, v70, v0
	v_and_b32_e32 v176, 0xff, v0
	v_mul_u32_u24_e32 v0, 10, v176
	v_lshlrev_b32_e32 v35, 2, v0
	global_load_dwordx4 v[4:7], v35, s[10:11]
	s_waitcnt vmcnt(0)
	v_mul_f16_sdwa v0, v57, v4 dst_sel:DWORD dst_unused:UNUSED_PAD src0_sel:DWORD src1_sel:WORD_1
	v_mul_f16_sdwa v58, v33, v4 dst_sel:DWORD dst_unused:UNUSED_PAD src0_sel:DWORD src1_sel:WORD_1
	;; [unrolled: 1-line block ×4, first 2 shown]
	v_fma_f16 v59, v33, v4, -v0
	v_mul_f16_sdwa v0, v188, v5 dst_sel:DWORD dst_unused:UNUSED_PAD src0_sel:DWORD src1_sel:WORD_1
	v_fmac_f16_e32 v58, v57, v4
	v_mul_f16_sdwa v57, v44, v5 dst_sel:DWORD dst_unused:UNUSED_PAD src0_sel:DWORD src1_sel:WORD_1
	v_fmac_f16_e32 v53, v138, v6
	v_fmac_f16_e32 v49, v137, v7
	v_fma_f16 v56, v44, v5, -v0
	v_mul_f16_sdwa v0, v138, v6 dst_sel:DWORD dst_unused:UNUSED_PAD src0_sel:DWORD src1_sel:WORD_1
	v_fmac_f16_e32 v57, v188, v5
	v_fma_f16 v52, v45, v6, -v0
	v_mul_f16_sdwa v0, v137, v7 dst_sel:DWORD dst_unused:UNUSED_PAD src0_sel:DWORD src1_sel:WORD_1
	v_fma_f16 v48, v50, v7, -v0
	global_load_dwordx4 v[0:3], v35, s[10:11] offset:16
	s_waitcnt vmcnt(0)
	v_mul_f16_sdwa v33, v117, v0 dst_sel:DWORD dst_unused:UNUSED_PAD src0_sel:DWORD src1_sel:WORD_1
	v_mul_f16_sdwa v45, v39, v2 dst_sel:DWORD dst_unused:UNUSED_PAD src0_sel:DWORD src1_sel:WORD_1
	;; [unrolled: 1-line block ×3, first 2 shown]
	v_fma_f16 v50, v51, v0, -v33
	v_mul_f16_sdwa v33, v111, v1 dst_sel:DWORD dst_unused:UNUSED_PAD src0_sel:DWORD src1_sel:WORD_1
	v_fmac_f16_e32 v45, v90, v2
	v_mul_f16_sdwa v51, v51, v0 dst_sel:DWORD dst_unused:UNUSED_PAD src0_sel:DWORD src1_sel:WORD_1
	v_fmac_f16_e32 v47, v111, v1
	v_add_f16_e32 v111, v189, v190
	v_fma_f16 v46, v38, v1, -v33
	v_mul_f16_sdwa v33, v90, v2 dst_sel:DWORD dst_unused:UNUSED_PAD src0_sel:DWORD src1_sel:WORD_1
	v_fmac_f16_e32 v51, v117, v0
	v_sub_f16_e32 v117, v189, v190
	v_sub_f16_e32 v233, v50, v46
	v_fma_f16 v44, v39, v2, -v33
	v_mul_f16_sdwa v39, v40, v3 dst_sel:DWORD dst_unused:UNUSED_PAD src0_sel:DWORD src1_sel:WORD_1
	v_mul_f16_sdwa v33, v89, v3 dst_sel:DWORD dst_unused:UNUSED_PAD src0_sel:DWORD src1_sel:WORD_1
	v_mul_f16_e32 v138, 0xb853, v117
	v_mul_f16_e32 v191, 0xbb47, v117
	;; [unrolled: 1-line block ×3, first 2 shown]
	v_fmac_f16_e32 v39, v89, v3
	global_load_dwordx2 v[89:90], v35, s[10:11] offset:32
	v_fma_f16 v38, v40, v3, -v33
	v_mul_f16_e32 v199, 0xba0c, v117
	v_mul_f16_e32 v117, 0xb482, v117
	v_sub_f16_e32 v234, v51, v47
	v_mul_f16_e32 v226, 0xb482, v233
	s_waitcnt vmcnt(0)
	s_barrier
	buffer_gl0_inv
	v_mul_f16_e32 v225, 0xb482, v234
	v_mul_f16_sdwa v33, v68, v89 dst_sel:DWORD dst_unused:UNUSED_PAD src0_sel:DWORD src1_sel:WORD_1
	v_mul_f16_sdwa v35, v67, v90 dst_sel:DWORD dst_unused:UNUSED_PAD src0_sel:DWORD src1_sel:WORD_1
	v_fma_f16 v40, v41, v89, -v33
	v_mul_f16_sdwa v41, v41, v89 dst_sel:DWORD dst_unused:UNUSED_PAD src0_sel:DWORD src1_sel:WORD_1
	v_mul_f16_sdwa v33, v110, v90 dst_sel:DWORD dst_unused:UNUSED_PAD src0_sel:DWORD src1_sel:WORD_1
	v_fmac_f16_e32 v35, v110, v90
	v_add_f16_e32 v110, v108, v109
	v_add_f16_e32 v209, v56, v40
	v_fmac_f16_e32 v41, v68, v89
	v_add_f16_sdwa v68, v36, v108 dst_sel:DWORD dst_unused:UNUSED_PAD src0_sel:WORD_1 src1_sel:DWORD
	v_fma_f16 v33, v67, v90, -v33
	v_add_f16_e32 v67, v36, v189
	v_sub_f16_e32 v108, v108, v109
	v_fmamk_f16 v188, v110, 0x3abb, v138
	v_add_f16_e32 v68, v68, v85
	v_fma_f16 v138, v110, 0x3abb, -v138
	v_add_f16_e32 v67, v67, v84
	v_mul_f16_e32 v189, 0xbb47, v108
	v_mul_f16_e32 v193, 0xbbeb, v108
	v_add_f16_e32 v68, v68, v81
	v_mul_f16_e32 v197, 0xba0c, v108
	v_add_f16_e32 v67, v67, v80
	v_fmamk_f16 v192, v110, 0x36a6, v191
	v_fma_f16 v191, v110, 0x36a6, -v191
	v_add_f16_e32 v68, v68, v77
	v_fma_f16 v194, v111, 0xb08e, -v193
	v_add_f16_e32 v67, v67, v75
	v_fmamk_f16 v196, v110, 0xb08e, v195
	v_fmac_f16_e32 v193, 0xb08e, v111
	v_add_f16_e32 v68, v68, v69
	v_fma_f16 v195, v110, 0xb08e, -v195
	v_add_f16_e32 v67, v67, v66
	v_fma_f16 v198, v111, 0xb93d, -v197
	v_fmamk_f16 v200, v110, 0xb93d, v199
	v_add_f16_e32 v68, v68, v74
	v_fmac_f16_e32 v197, 0xb93d, v111
	v_add_f16_e32 v67, v67, v73
	v_fma_f16 v199, v110, 0xb93d, -v199
	v_fmamk_f16 v202, v110, 0xbbad, v117
	v_add_f16_e32 v68, v68, v79
	v_fma_f16 v110, v110, 0xbbad, -v117
	v_add_f16_e32 v67, v67, v78
	v_add_f16_sdwa v188, v36, v188 dst_sel:DWORD dst_unused:UNUSED_PAD src0_sel:WORD_1 src1_sel:DWORD
	v_add_f16_sdwa v138, v36, v138 dst_sel:DWORD dst_unused:UNUSED_PAD src0_sel:WORD_1 src1_sel:DWORD
	v_add_f16_e32 v68, v68, v83
	v_add_f16_sdwa v192, v36, v192 dst_sel:DWORD dst_unused:UNUSED_PAD src0_sel:WORD_1 src1_sel:DWORD
	v_add_f16_e32 v67, v67, v82
	;; [unrolled: 2-line block ×3, first 2 shown]
	v_add_f16_e32 v68, v68, v107
	v_add_f16_sdwa v196, v36, v196 dst_sel:DWORD dst_unused:UNUSED_PAD src0_sel:WORD_1 src1_sel:DWORD
	v_add_f16_e32 v67, v67, v86
	v_add_f16_e32 v193, v36, v193
	v_add_f16_sdwa v195, v36, v195 dst_sel:DWORD dst_unused:UNUSED_PAD src0_sel:WORD_1 src1_sel:DWORD
	v_add_f16_e32 v68, v68, v109
	v_mul_f16_e32 v109, 0xb853, v108
	v_mul_f16_e32 v108, 0xb482, v108
	v_add_f16_e32 v67, v67, v190
	v_fma_f16 v190, v111, 0x36a6, -v189
	v_fmac_f16_e32 v189, 0x36a6, v111
	v_fma_f16 v137, v111, 0x3abb, -v109
	v_fmac_f16_e32 v109, 0x3abb, v111
	v_fma_f16 v201, v111, 0xbbad, -v108
	v_fmac_f16_e32 v108, 0xbbad, v111
	v_add_f16_e32 v111, v85, v107
	v_sub_f16_e32 v85, v85, v107
	v_add_f16_e32 v137, v36, v137
	v_add_f16_e32 v109, v36, v109
	;; [unrolled: 1-line block ×5, first 2 shown]
	v_add_f16_sdwa v200, v36, v200 dst_sel:DWORD dst_unused:UNUSED_PAD src0_sel:WORD_1 src1_sel:DWORD
	v_add_f16_e32 v197, v36, v197
	v_add_f16_sdwa v199, v36, v199 dst_sel:DWORD dst_unused:UNUSED_PAD src0_sel:WORD_1 src1_sel:DWORD
	v_add_f16_e32 v201, v36, v201
	;; [unrolled: 2-line block ×4, first 2 shown]
	v_sub_f16_e32 v84, v84, v86
	v_mul_f16_e32 v86, 0xbb47, v85
	v_add_f16_e32 v210, v57, v41
	v_mul_f16_e32 v117, 0xbb47, v84
	v_fma_f16 v107, v110, 0x36a6, -v86
	v_fmac_f16_e32 v86, 0x36a6, v110
	v_add_f16_e32 v107, v107, v137
	v_fmamk_f16 v137, v111, 0x36a6, v117
	v_add_f16_e32 v86, v86, v109
	v_fma_f16 v109, v111, 0x36a6, -v117
	v_mul_f16_e32 v117, 0xba0c, v85
	v_add_f16_e32 v137, v137, v188
	v_mul_f16_e32 v188, 0xba0c, v84
	v_add_f16_e32 v109, v109, v138
	v_fma_f16 v138, v110, 0xb93d, -v117
	v_fmac_f16_e32 v117, 0xb93d, v110
	v_add_f16_e32 v138, v138, v190
	v_fmamk_f16 v190, v111, 0xb93d, v188
	v_add_f16_e32 v117, v117, v189
	v_fma_f16 v188, v111, 0xb93d, -v188
	v_mul_f16_e32 v189, 0x3482, v85
	v_add_f16_e32 v190, v190, v192
	v_mul_f16_e32 v192, 0x3482, v84
	v_add_f16_e32 v188, v188, v191
	v_fma_f16 v191, v110, 0xbbad, -v189
	v_fmac_f16_e32 v189, 0xbbad, v110
	v_add_f16_e32 v191, v191, v194
	v_fmamk_f16 v194, v111, 0xbbad, v192
	v_add_f16_e32 v189, v189, v193
	v_fma_f16 v192, v111, 0xbbad, -v192
	v_mul_f16_e32 v193, 0x3beb, v85
	v_mul_f16_e32 v85, 0x3853, v85
	v_add_f16_e32 v194, v194, v196
	v_mul_f16_e32 v196, 0x3beb, v84
	v_add_f16_e32 v192, v192, v195
	v_fma_f16 v195, v110, 0xb08e, -v193
	v_fmac_f16_e32 v193, 0xb08e, v110
	v_mul_f16_e32 v84, 0x3853, v84
	v_add_f16_e32 v195, v195, v198
	v_fmamk_f16 v198, v111, 0xb08e, v196
	v_add_f16_e32 v193, v193, v197
	v_fma_f16 v196, v111, 0xb08e, -v196
	v_fma_f16 v197, v110, 0x3abb, -v85
	v_fmac_f16_e32 v85, 0x3abb, v110
	v_add_f16_e32 v198, v198, v200
	v_add_f16_e32 v196, v196, v199
	v_fmamk_f16 v199, v111, 0x3abb, v84
	v_add_f16_e32 v85, v85, v108
	v_fma_f16 v84, v111, 0x3abb, -v84
	v_add_f16_e32 v108, v81, v83
	v_sub_f16_e32 v81, v81, v83
	v_add_f16_e32 v197, v197, v201
	v_add_f16_e32 v199, v199, v202
	;; [unrolled: 1-line block ×4, first 2 shown]
	v_sub_f16_e32 v80, v80, v82
	v_mul_f16_e32 v82, 0xbbeb, v81
	v_mul_f16_e32 v111, 0x3482, v80
	v_fma_f16 v83, v84, 0xb08e, -v82
	v_fmac_f16_e32 v82, 0xb08e, v84
	v_add_f16_e32 v83, v83, v107
	v_mul_f16_e32 v107, 0xbbeb, v80
	v_add_f16_e32 v82, v82, v86
	v_fmamk_f16 v110, v108, 0xb08e, v107
	v_fma_f16 v86, v108, 0xb08e, -v107
	v_mul_f16_e32 v107, 0x3482, v81
	v_add_f16_e32 v110, v110, v137
	v_add_f16_e32 v86, v86, v109
	v_fma_f16 v109, v84, 0xbbad, -v107
	v_fmac_f16_e32 v107, 0xbbad, v84
	v_fmamk_f16 v137, v108, 0xbbad, v111
	v_fma_f16 v111, v108, 0xbbad, -v111
	v_add_f16_e32 v109, v109, v138
	v_add_f16_e32 v107, v107, v117
	v_mul_f16_e32 v117, 0x3b47, v81
	v_add_f16_e32 v111, v111, v188
	v_mul_f16_e32 v188, 0x3b47, v80
	v_add_f16_e32 v137, v137, v190
	v_fma_f16 v138, v84, 0x36a6, -v117
	v_fmac_f16_e32 v117, 0x36a6, v84
	v_fmamk_f16 v190, v108, 0x36a6, v188
	v_fma_f16 v188, v108, 0x36a6, -v188
	v_add_f16_e32 v138, v138, v191
	v_add_f16_e32 v117, v117, v189
	v_mul_f16_e32 v189, 0xb853, v81
	v_add_f16_e32 v188, v188, v192
	v_mul_f16_e32 v192, 0xb853, v80
	v_mul_f16_e32 v81, 0xba0c, v81
	;; [unrolled: 1-line block ×3, first 2 shown]
	v_fma_f16 v191, v84, 0x3abb, -v189
	v_fmac_f16_e32 v189, 0x3abb, v84
	v_add_f16_e32 v190, v190, v194
	v_fmamk_f16 v194, v108, 0x3abb, v192
	v_fma_f16 v192, v108, 0x3abb, -v192
	v_add_f16_e32 v191, v191, v195
	v_add_f16_e32 v189, v189, v193
	v_fma_f16 v193, v84, 0xb93d, -v81
	v_fmamk_f16 v195, v108, 0xb93d, v80
	v_fmac_f16_e32 v81, 0xb93d, v84
	v_fma_f16 v80, v108, 0xb93d, -v80
	v_add_f16_e32 v84, v77, v79
	v_sub_f16_e32 v77, v77, v79
	v_add_f16_e32 v192, v192, v196
	v_add_f16_e32 v81, v81, v85
	v_add_f16_e32 v36, v80, v36
	v_add_f16_e32 v80, v75, v78
	v_sub_f16_e32 v75, v75, v78
	v_mul_f16_e32 v78, 0xba0c, v77
	v_add_f16_e32 v193, v193, v197
	v_add_f16_e32 v194, v194, v198
	;; [unrolled: 1-line block ×3, first 2 shown]
	v_mul_f16_e32 v108, 0x3beb, v75
	v_fma_f16 v79, v80, 0xb93d, -v78
	v_fmac_f16_e32 v78, 0xb93d, v80
	v_sub_f16_e32 v69, v69, v74
	v_add_f16_e32 v197, v66, v73
	v_sub_f16_e32 v73, v66, v73
	v_add_f16_e32 v79, v79, v83
	v_mul_f16_e32 v83, 0xba0c, v75
	v_add_f16_e32 v78, v78, v82
	v_add_f16_e32 v195, v195, v199
	v_fmamk_f16 v85, v84, 0xb93d, v83
	v_fma_f16 v82, v84, 0xb93d, -v83
	v_mul_f16_e32 v83, 0x3beb, v77
	v_add_f16_e32 v85, v85, v110
	v_add_f16_e32 v82, v82, v86
	v_fma_f16 v86, v80, 0xb08e, -v83
	v_fmac_f16_e32 v83, 0xb08e, v80
	v_add_f16_e32 v86, v86, v109
	v_add_f16_e32 v83, v83, v107
	v_fma_f16 v107, v84, 0xb08e, -v108
	v_fmamk_f16 v109, v84, 0xb08e, v108
	v_add_f16_e32 v110, v107, v111
	v_mul_f16_e32 v107, 0xb853, v77
	v_add_f16_e32 v109, v109, v137
	v_fma_f16 v108, v80, 0x3abb, -v107
	v_fmac_f16_e32 v107, 0x3abb, v80
	v_add_f16_e32 v137, v108, v138
	v_mul_f16_e32 v108, 0xb853, v75
	v_fmamk_f16 v111, v84, 0x3abb, v108
	v_add_f16_e32 v138, v111, v190
	v_add_f16_e32 v190, v107, v117
	v_fma_f16 v107, v84, 0x3abb, -v108
	v_add_f16_e32 v188, v107, v188
	v_mul_f16_e32 v107, 0xb482, v77
	v_mul_f16_e32 v77, 0x3b47, v77
	v_fma_f16 v108, v80, 0xbbad, -v107
	v_fmac_f16_e32 v107, 0xbbad, v80
	v_add_f16_e32 v191, v108, v191
	v_mul_f16_e32 v108, 0xb482, v75
	v_add_f16_e32 v189, v107, v189
	v_mul_f16_e32 v75, 0x3b47, v75
	v_fma_f16 v107, v84, 0xbbad, -v108
	v_fmamk_f16 v111, v84, 0xbbad, v108
	v_add_f16_e32 v192, v107, v192
	v_fma_f16 v107, v80, 0x36a6, -v77
	v_add_f16_e32 v194, v111, v194
	v_fmac_f16_e32 v77, 0x36a6, v80
	v_add_f16_e32 v193, v107, v193
	v_fmamk_f16 v107, v84, 0x36a6, v75
	v_fma_f16 v75, v84, 0x36a6, -v75
	v_add_f16_e32 v81, v77, v81
	v_add_f16_e32 v195, v107, v195
	;; [unrolled: 1-line block ×3, first 2 shown]
	v_mul_f16_e32 v36, 0xb482, v69
	v_fma_f16 v66, v197, 0xbbad, -v36
	v_fmac_f16_e32 v36, 0xbbad, v197
	v_add_f16_e32 v111, v66, v79
	v_mul_f16_e32 v66, 0xb482, v73
	v_add_f16_e32 v36, v36, v78
	v_fmamk_f16 v74, v198, 0xbbad, v66
	v_fma_f16 v66, v198, 0xbbad, -v66
	v_add_f16_e32 v117, v74, v85
	v_mul_f16_e32 v74, 0x3853, v69
	v_add_f16_e32 v66, v66, v82
	v_fma_f16 v75, v197, 0x3abb, -v74
	v_fmac_f16_e32 v74, 0x3abb, v197
	v_pack_b32_f16 v36, v36, v66
	v_add_f16_e32 v107, v75, v86
	v_mul_f16_e32 v75, 0x3853, v73
	v_add_f16_e32 v74, v74, v83
	v_fmamk_f16 v77, v198, 0x3abb, v75
	v_fma_f16 v75, v198, 0x3abb, -v75
	v_add_f16_e32 v108, v77, v109
	v_mul_f16_e32 v77, 0xba0c, v69
	v_add_f16_e32 v75, v75, v110
	v_fma_f16 v78, v197, 0xb93d, -v77
	v_fmac_f16_e32 v77, 0xb93d, v197
	v_add_f16_e32 v109, v78, v137
	v_mul_f16_e32 v78, 0xba0c, v73
	v_add_f16_e32 v137, v134, v135
	v_add_f16_e32 v77, v77, v190
	v_fmamk_f16 v79, v198, 0xb93d, v78
	v_fma_f16 v78, v198, 0xb93d, -v78
	v_add_f16_e32 v110, v79, v138
	v_mul_f16_e32 v79, 0x3b47, v69
	v_mul_f16_e32 v69, 0xbbeb, v69
	v_add_f16_e32 v138, v136, v187
	v_add_f16_e32 v78, v78, v188
	v_fma_f16 v80, v197, 0x36a6, -v79
	v_fmac_f16_e32 v79, 0x36a6, v197
	v_add_f16_e32 v83, v80, v191
	v_mul_f16_e32 v80, 0x3b47, v73
	v_mul_f16_e32 v73, 0xbbeb, v73
	v_add_f16_e32 v79, v79, v189
	v_fmamk_f16 v82, v198, 0x36a6, v80
	v_fma_f16 v80, v198, 0x36a6, -v80
	v_add_f16_e32 v84, v82, v194
	v_fma_f16 v82, v197, 0xb08e, -v69
	v_fmac_f16_e32 v69, 0xb08e, v197
	v_add_f16_e32 v80, v80, v192
	v_add_f16_e32 v85, v82, v193
	v_fmamk_f16 v82, v198, 0xb08e, v73
	v_add_f16_e32 v81, v69, v81
	v_fma_f16 v69, v198, 0xb08e, -v73
	v_add_f16_sdwa v73, v37, v134 dst_sel:DWORD dst_unused:UNUSED_PAD src0_sel:WORD_1 src1_sel:DWORD
	v_sub_f16_e32 v134, v134, v135
	v_add_f16_e32 v86, v82, v195
	v_add_f16_e32 v82, v69, v196
	v_add_f16_e32 v69, v37, v136
	v_add_f16_e32 v73, v73, v131
	v_sub_f16_e32 v136, v136, v187
	v_mul_f16_e32 v190, 0xbb47, v134
	v_mul_f16_e32 v194, 0xbbeb, v134
	v_add_f16_e32 v69, v69, v130
	v_add_f16_e32 v73, v73, v127
	v_mul_f16_e32 v188, 0xb853, v136
	v_mul_f16_e32 v192, 0xbb47, v136
	;; [unrolled: 1-line block ×3, first 2 shown]
	v_add_f16_e32 v69, v69, v126
	v_add_f16_e32 v73, v73, v120
	v_mul_f16_e32 v198, 0xba0c, v134
	v_mul_f16_e32 v200, 0xba0c, v136
	;; [unrolled: 1-line block ×3, first 2 shown]
	v_add_f16_e32 v69, v69, v119
	v_add_f16_e32 v73, v73, v105
	v_fmamk_f16 v189, v137, 0x3abb, v188
	v_fma_f16 v188, v137, 0x3abb, -v188
	v_fma_f16 v191, v138, 0x36a6, -v190
	v_add_f16_e32 v69, v69, v87
	v_add_f16_e32 v73, v73, v118
	v_fmamk_f16 v193, v137, 0x36a6, v192
	v_fmac_f16_e32 v190, 0x36a6, v138
	v_fma_f16 v192, v137, 0x36a6, -v192
	v_add_f16_e32 v69, v69, v106
	v_add_f16_e32 v73, v73, v125
	v_fma_f16 v195, v138, 0xb08e, -v194
	v_fmamk_f16 v197, v137, 0xb08e, v196
	v_fmac_f16_e32 v194, 0xb08e, v138
	v_add_f16_e32 v69, v69, v121
	v_add_f16_e32 v73, v73, v129
	v_fma_f16 v196, v137, 0xb08e, -v196
	v_fma_f16 v199, v138, 0xb93d, -v198
	v_fmamk_f16 v201, v137, 0xb93d, v200
	v_add_f16_e32 v69, v69, v128
	v_add_f16_e32 v73, v73, v133
	v_fmac_f16_e32 v198, 0xb93d, v138
	v_fma_f16 v200, v137, 0xb93d, -v200
	v_fmamk_f16 v203, v137, 0xbbad, v136
	v_add_f16_e32 v69, v69, v132
	v_add_f16_e32 v73, v73, v135
	v_mul_f16_e32 v135, 0xb853, v134
	v_mul_f16_e32 v134, 0xb482, v134
	v_fma_f16 v136, v137, 0xbbad, -v136
	v_add_f16_e32 v69, v69, v187
	v_add_f16_e32 v137, v131, v133
	v_fma_f16 v187, v138, 0x3abb, -v135
	v_fmac_f16_e32 v135, 0x3abb, v138
	v_fma_f16 v202, v138, 0xbbad, -v134
	v_fmac_f16_e32 v134, 0xbbad, v138
	v_sub_f16_e32 v131, v131, v133
	v_add_f16_e32 v187, v37, v187
	v_add_f16_sdwa v189, v37, v189 dst_sel:DWORD dst_unused:UNUSED_PAD src0_sel:WORD_1 src1_sel:DWORD
	v_add_f16_e32 v135, v37, v135
	v_add_f16_sdwa v188, v37, v188 dst_sel:DWORD dst_unused:UNUSED_PAD src0_sel:WORD_1 src1_sel:DWORD
	;; [unrolled: 2-line block ×10, first 2 shown]
	v_add_f16_e32 v136, v130, v132
	v_sub_f16_e32 v130, v130, v132
	v_mul_f16_e32 v132, 0xbb47, v131
	v_mul_f16_e32 v138, 0xbb47, v130
	v_fma_f16 v133, v136, 0x36a6, -v132
	v_fmac_f16_e32 v132, 0x36a6, v136
	v_add_f16_e32 v133, v133, v187
	v_fmamk_f16 v187, v137, 0x36a6, v138
	v_add_f16_e32 v132, v132, v135
	v_fma_f16 v135, v137, 0x36a6, -v138
	v_mul_f16_e32 v138, 0xba0c, v131
	v_add_f16_e32 v187, v187, v189
	v_mul_f16_e32 v189, 0xba0c, v130
	v_add_f16_e32 v135, v135, v188
	v_fma_f16 v188, v136, 0xb93d, -v138
	v_fmac_f16_e32 v138, 0xb93d, v136
	v_add_f16_e32 v188, v188, v191
	v_fmamk_f16 v191, v137, 0xb93d, v189
	v_add_f16_e32 v138, v138, v190
	v_fma_f16 v189, v137, 0xb93d, -v189
	v_mul_f16_e32 v190, 0x3482, v131
	v_add_f16_e32 v191, v191, v193
	v_mul_f16_e32 v193, 0x3482, v130
	v_add_f16_e32 v189, v189, v192
	v_fma_f16 v192, v136, 0xbbad, -v190
	v_fmac_f16_e32 v190, 0xbbad, v136
	v_add_f16_e32 v192, v192, v195
	v_fmamk_f16 v195, v137, 0xbbad, v193
	v_add_f16_e32 v190, v190, v194
	v_fma_f16 v193, v137, 0xbbad, -v193
	v_mul_f16_e32 v194, 0x3beb, v131
	v_mul_f16_e32 v131, 0x3853, v131
	v_add_f16_e32 v195, v195, v197
	v_mul_f16_e32 v197, 0x3beb, v130
	v_add_f16_e32 v193, v193, v196
	v_fma_f16 v196, v136, 0xb08e, -v194
	v_fmac_f16_e32 v194, 0xb08e, v136
	v_mul_f16_e32 v130, 0x3853, v130
	v_add_f16_e32 v196, v196, v199
	v_fmamk_f16 v199, v137, 0xb08e, v197
	v_add_f16_e32 v194, v194, v198
	v_fma_f16 v197, v137, 0xb08e, -v197
	v_fma_f16 v198, v136, 0x3abb, -v131
	v_fmac_f16_e32 v131, 0x3abb, v136
	v_add_f16_e32 v199, v199, v201
	v_add_f16_e32 v197, v197, v200
	v_fmamk_f16 v200, v137, 0x3abb, v130
	v_add_f16_e32 v131, v131, v134
	v_fma_f16 v130, v137, 0x3abb, -v130
	v_add_f16_e32 v134, v127, v129
	v_sub_f16_e32 v127, v127, v129
	v_add_f16_e32 v198, v198, v202
	v_add_f16_e32 v200, v200, v203
	;; [unrolled: 1-line block ×4, first 2 shown]
	v_sub_f16_e32 v126, v126, v128
	v_mul_f16_e32 v128, 0xbbeb, v127
	v_mul_f16_e32 v137, 0x3482, v126
	v_fma_f16 v129, v130, 0xb08e, -v128
	v_fmac_f16_e32 v128, 0xb08e, v130
	v_add_f16_e32 v129, v129, v133
	v_mul_f16_e32 v133, 0xbbeb, v126
	v_add_f16_e32 v128, v128, v132
	v_fmamk_f16 v136, v134, 0xb08e, v133
	v_fma_f16 v132, v134, 0xb08e, -v133
	v_mul_f16_e32 v133, 0x3482, v127
	v_add_f16_e32 v136, v136, v187
	v_add_f16_e32 v132, v132, v135
	v_fma_f16 v135, v130, 0xbbad, -v133
	v_fmac_f16_e32 v133, 0xbbad, v130
	v_fmamk_f16 v187, v134, 0xbbad, v137
	v_fma_f16 v137, v134, 0xbbad, -v137
	v_add_f16_e32 v135, v135, v188
	v_add_f16_e32 v133, v133, v138
	v_mul_f16_e32 v138, 0x3b47, v127
	v_add_f16_e32 v137, v137, v189
	v_mul_f16_e32 v189, 0x3b47, v126
	v_add_f16_e32 v187, v187, v191
	v_fma_f16 v188, v130, 0x36a6, -v138
	v_fmac_f16_e32 v138, 0x36a6, v130
	v_fmamk_f16 v191, v134, 0x36a6, v189
	v_fma_f16 v189, v134, 0x36a6, -v189
	v_add_f16_e32 v188, v188, v192
	v_add_f16_e32 v138, v138, v190
	v_mul_f16_e32 v190, 0xb853, v127
	v_add_f16_e32 v189, v189, v193
	v_mul_f16_e32 v193, 0xb853, v126
	v_mul_f16_e32 v127, 0xba0c, v127
	;; [unrolled: 1-line block ×3, first 2 shown]
	v_fma_f16 v192, v130, 0x3abb, -v190
	v_fmac_f16_e32 v190, 0x3abb, v130
	v_add_f16_e32 v191, v191, v195
	v_fmamk_f16 v195, v134, 0x3abb, v193
	v_fma_f16 v193, v134, 0x3abb, -v193
	v_add_f16_e32 v192, v192, v196
	v_add_f16_e32 v190, v190, v194
	v_fma_f16 v194, v130, 0xb93d, -v127
	v_fmamk_f16 v196, v134, 0xb93d, v126
	v_fmac_f16_e32 v127, 0xb93d, v130
	v_fma_f16 v126, v134, 0xb93d, -v126
	v_add_f16_e32 v130, v120, v125
	v_sub_f16_e32 v120, v120, v125
	v_add_f16_e32 v193, v193, v197
	v_add_f16_e32 v127, v127, v131
	;; [unrolled: 1-line block ×4, first 2 shown]
	v_sub_f16_e32 v119, v119, v121
	v_mul_f16_e32 v121, 0xba0c, v120
	v_add_f16_e32 v194, v194, v198
	v_add_f16_e32 v195, v195, v199
	;; [unrolled: 1-line block ×3, first 2 shown]
	v_mul_f16_e32 v134, 0x3beb, v119
	v_fma_f16 v125, v126, 0xb93d, -v121
	v_fmac_f16_e32 v121, 0xb93d, v126
	v_sub_f16_e32 v105, v105, v118
	v_add_f16_e32 v198, v87, v106
	v_sub_f16_e32 v106, v87, v106
	v_add_f16_e32 v125, v125, v129
	v_mul_f16_e32 v129, 0xba0c, v119
	v_add_f16_e32 v121, v121, v128
	v_add_f16_e32 v196, v196, v200
	v_fmamk_f16 v131, v130, 0xb93d, v129
	v_fma_f16 v128, v130, 0xb93d, -v129
	v_mul_f16_e32 v129, 0x3beb, v120
	v_add_f16_e32 v131, v131, v136
	v_add_f16_e32 v128, v128, v132
	v_fma_f16 v132, v126, 0xb08e, -v129
	v_fmac_f16_e32 v129, 0xb08e, v126
	v_add_f16_e32 v132, v132, v135
	v_add_f16_e32 v129, v129, v133
	v_fma_f16 v133, v130, 0xb08e, -v134
	v_fmamk_f16 v135, v130, 0xb08e, v134
	v_add_f16_e32 v136, v133, v137
	v_mul_f16_e32 v133, 0xb853, v120
	v_add_f16_e32 v135, v135, v187
	v_fma_f16 v134, v126, 0x3abb, -v133
	v_fmac_f16_e32 v133, 0x3abb, v126
	v_add_f16_e32 v187, v134, v188
	v_mul_f16_e32 v134, 0xb853, v119
	v_fmamk_f16 v137, v130, 0x3abb, v134
	v_add_f16_e32 v188, v137, v191
	v_add_f16_e32 v191, v133, v138
	v_fma_f16 v133, v130, 0x3abb, -v134
	v_add_f16_e32 v189, v133, v189
	v_mul_f16_e32 v133, 0xb482, v120
	v_mul_f16_e32 v120, 0x3b47, v120
	v_fma_f16 v134, v126, 0xbbad, -v133
	v_fmac_f16_e32 v133, 0xbbad, v126
	v_add_f16_e32 v192, v134, v192
	v_mul_f16_e32 v134, 0xb482, v119
	v_add_f16_e32 v190, v133, v190
	v_mul_f16_e32 v119, 0x3b47, v119
	v_fma_f16 v133, v130, 0xbbad, -v134
	v_fmamk_f16 v137, v130, 0xbbad, v134
	v_add_f16_e32 v193, v133, v193
	v_fma_f16 v133, v126, 0x36a6, -v120
	v_add_f16_e32 v195, v137, v195
	v_fmac_f16_e32 v120, 0x36a6, v126
	v_add_f16_e32 v194, v133, v194
	v_fmamk_f16 v133, v130, 0x36a6, v119
	v_fma_f16 v119, v130, 0x36a6, -v119
	v_add_f16_e32 v127, v120, v127
	v_add_f16_e32 v196, v133, v196
	;; [unrolled: 1-line block ×3, first 2 shown]
	v_mul_f16_e32 v37, 0xb482, v105
	v_fma_f16 v87, v198, 0xbbad, -v37
	v_fmac_f16_e32 v37, 0xbbad, v198
	v_add_f16_e32 v137, v87, v125
	v_mul_f16_e32 v87, 0xb482, v106
	v_add_f16_e32 v37, v37, v121
	v_fmamk_f16 v118, v199, 0xbbad, v87
	v_fma_f16 v87, v199, 0xbbad, -v87
	v_add_f16_e32 v138, v118, v131
	v_mul_f16_e32 v118, 0x3853, v105
	v_add_f16_e32 v87, v87, v128
	v_fma_f16 v119, v198, 0x3abb, -v118
	v_fmac_f16_e32 v118, 0x3abb, v198
	v_add_f16_e32 v133, v119, v132
	v_mul_f16_e32 v119, 0x3853, v106
	v_add_f16_e32 v118, v118, v129
	v_fmamk_f16 v120, v199, 0x3abb, v119
	v_fma_f16 v119, v199, 0x3abb, -v119
	v_add_f16_e32 v134, v120, v135
	v_mul_f16_e32 v120, 0xba0c, v105
	v_add_f16_e32 v119, v119, v136
	v_fma_f16 v121, v198, 0xb93d, -v120
	v_fmac_f16_e32 v120, 0xb93d, v198
	v_add_f16_e32 v135, v121, v187
	v_mul_f16_e32 v121, 0xba0c, v106
	v_add_f16_e32 v187, v183, v184
	v_add_f16_e32 v120, v120, v191
	v_fmamk_f16 v125, v199, 0xb93d, v121
	v_fma_f16 v121, v199, 0xb93d, -v121
	v_add_f16_e32 v136, v125, v188
	v_mul_f16_e32 v125, 0x3b47, v105
	v_mul_f16_e32 v105, 0xbbeb, v105
	v_add_f16_e32 v188, v185, v186
	v_add_f16_e32 v121, v121, v189
	v_fma_f16 v126, v198, 0x36a6, -v125
	v_fmac_f16_e32 v125, 0x36a6, v198
	v_add_f16_e32 v129, v126, v192
	v_mul_f16_e32 v126, 0x3b47, v106
	v_mul_f16_e32 v106, 0xbbeb, v106
	v_add_f16_e32 v125, v125, v190
	v_fmamk_f16 v128, v199, 0x36a6, v126
	v_fma_f16 v126, v199, 0x36a6, -v126
	v_add_f16_e32 v130, v128, v195
	v_fma_f16 v128, v198, 0xb08e, -v105
	v_fmac_f16_e32 v105, 0xb08e, v198
	v_add_f16_e32 v126, v126, v193
	v_add_f16_e32 v131, v128, v194
	v_fmamk_f16 v128, v199, 0xb08e, v106
	v_add_f16_e32 v127, v105, v127
	v_fma_f16 v105, v199, 0xb08e, -v106
	v_add_f16_sdwa v106, v34, v183 dst_sel:DWORD dst_unused:UNUSED_PAD src0_sel:WORD_1 src1_sel:DWORD
	v_sub_f16_e32 v183, v183, v184
	v_add_f16_e32 v132, v128, v196
	v_add_f16_e32 v128, v105, v197
	;; [unrolled: 1-line block ×4, first 2 shown]
	v_sub_f16_e32 v185, v185, v186
	v_mul_f16_e32 v191, 0xbb47, v183
	v_mul_f16_e32 v195, 0xbbeb, v183
	v_add_f16_e32 v105, v105, v179
	v_add_f16_e32 v106, v106, v123
	v_mul_f16_e32 v189, 0xb853, v185
	v_mul_f16_e32 v193, 0xbb47, v185
	v_mul_f16_e32 v197, 0xbbeb, v185
	v_add_f16_e32 v105, v105, v122
	v_add_f16_e32 v106, v106, v102
	v_mul_f16_e32 v199, 0xba0c, v183
	v_mul_f16_e32 v201, 0xba0c, v185
	;; [unrolled: 1-line block ×3, first 2 shown]
	v_add_f16_e32 v105, v105, v101
	v_add_f16_e32 v106, v106, v98
	v_fmamk_f16 v190, v187, 0x3abb, v189
	v_fma_f16 v189, v187, 0x3abb, -v189
	v_fma_f16 v192, v188, 0x36a6, -v191
	v_add_f16_e32 v105, v105, v97
	v_add_f16_e32 v106, v106, v100
	v_fmamk_f16 v194, v187, 0x36a6, v193
	v_fmac_f16_e32 v191, 0x36a6, v188
	v_fma_f16 v193, v187, 0x36a6, -v193
	v_add_f16_e32 v105, v105, v99
	v_add_f16_e32 v106, v106, v104
	v_fma_f16 v196, v188, 0xb08e, -v195
	v_fmamk_f16 v198, v187, 0xb08e, v197
	v_fmac_f16_e32 v195, 0xb08e, v188
	v_add_f16_e32 v105, v105, v103
	v_add_f16_e32 v106, v106, v178
	v_fma_f16 v197, v187, 0xb08e, -v197
	v_fma_f16 v200, v188, 0xb93d, -v199
	v_fmamk_f16 v202, v187, 0xb93d, v201
	v_add_f16_e32 v105, v105, v124
	v_add_f16_e32 v106, v106, v182
	v_fmac_f16_e32 v199, 0xb93d, v188
	v_fma_f16 v201, v187, 0xb93d, -v201
	v_fmamk_f16 v204, v187, 0xbbad, v185
	v_add_f16_e32 v105, v105, v181
	v_add_f16_e32 v106, v106, v184
	v_mul_f16_e32 v184, 0xb853, v183
	v_mul_f16_e32 v183, 0xb482, v183
	v_fma_f16 v185, v187, 0xbbad, -v185
	v_add_f16_e32 v105, v105, v186
	v_add_f16_e32 v187, v180, v182
	v_fma_f16 v186, v188, 0x3abb, -v184
	v_fmac_f16_e32 v184, 0x3abb, v188
	v_fma_f16 v203, v188, 0xbbad, -v183
	v_fmac_f16_e32 v183, 0xbbad, v188
	v_sub_f16_e32 v180, v180, v182
	v_add_f16_e32 v186, v34, v186
	v_add_f16_sdwa v190, v34, v190 dst_sel:DWORD dst_unused:UNUSED_PAD src0_sel:WORD_1 src1_sel:DWORD
	v_add_f16_e32 v184, v34, v184
	v_add_f16_sdwa v189, v34, v189 dst_sel:DWORD dst_unused:UNUSED_PAD src0_sel:WORD_1 src1_sel:DWORD
	;; [unrolled: 2-line block ×10, first 2 shown]
	v_add_f16_e32 v185, v179, v181
	v_sub_f16_e32 v179, v179, v181
	v_mul_f16_e32 v181, 0xbb47, v180
	v_fma_f16 v182, v185, 0x36a6, -v181
	v_fmac_f16_e32 v181, 0x36a6, v185
	v_add_f16_e32 v182, v182, v186
	v_mul_f16_e32 v186, 0xbb47, v179
	v_add_f16_e32 v181, v181, v184
	v_fmamk_f16 v188, v187, 0x36a6, v186
	v_fma_f16 v184, v187, 0x36a6, -v186
	v_mul_f16_e32 v186, 0xba0c, v180
	v_add_f16_e32 v188, v188, v190
	v_add_f16_e32 v184, v184, v189
	v_fma_f16 v189, v185, 0xb93d, -v186
	v_mul_f16_e32 v190, 0xba0c, v179
	v_fmac_f16_e32 v186, 0xb93d, v185
	v_add_f16_e32 v189, v189, v192
	v_fmamk_f16 v192, v187, 0xb93d, v190
	v_add_f16_e32 v186, v186, v191
	v_fma_f16 v190, v187, 0xb93d, -v190
	v_mul_f16_e32 v191, 0x3482, v180
	v_add_f16_e32 v192, v192, v194
	v_mul_f16_e32 v194, 0x3482, v179
	v_add_f16_e32 v190, v190, v193
	v_fma_f16 v193, v185, 0xbbad, -v191
	v_fmac_f16_e32 v191, 0xbbad, v185
	v_add_f16_e32 v193, v193, v196
	v_fmamk_f16 v196, v187, 0xbbad, v194
	v_add_f16_e32 v191, v191, v195
	v_fma_f16 v194, v187, 0xbbad, -v194
	v_mul_f16_e32 v195, 0x3beb, v180
	v_mul_f16_e32 v180, 0x3853, v180
	v_add_f16_e32 v196, v196, v198
	v_mul_f16_e32 v198, 0x3beb, v179
	v_add_f16_e32 v194, v194, v197
	v_fma_f16 v197, v185, 0xb08e, -v195
	v_fmac_f16_e32 v195, 0xb08e, v185
	v_mul_f16_e32 v179, 0x3853, v179
	v_add_f16_e32 v197, v197, v200
	v_fmamk_f16 v200, v187, 0xb08e, v198
	v_add_f16_e32 v195, v195, v199
	v_fma_f16 v198, v187, 0xb08e, -v198
	v_fma_f16 v199, v185, 0x3abb, -v180
	v_fmac_f16_e32 v180, 0x3abb, v185
	v_add_f16_e32 v200, v200, v202
	v_add_f16_e32 v198, v198, v201
	v_fmamk_f16 v201, v187, 0x3abb, v179
	v_add_f16_e32 v180, v180, v183
	v_fma_f16 v179, v187, 0x3abb, -v179
	v_add_f16_e32 v183, v123, v178
	v_sub_f16_e32 v123, v123, v178
	v_add_f16_e32 v199, v199, v203
	v_add_f16_e32 v201, v201, v204
	;; [unrolled: 1-line block ×4, first 2 shown]
	v_sub_f16_e32 v122, v122, v124
	v_mul_f16_e32 v124, 0xbbeb, v123
	v_mul_f16_e32 v187, 0x3482, v122
	v_fma_f16 v178, v179, 0xb08e, -v124
	v_fmac_f16_e32 v124, 0xb08e, v179
	v_add_f16_e32 v178, v178, v182
	v_mul_f16_e32 v182, 0xbbeb, v122
	v_add_f16_e32 v124, v124, v181
	v_fmamk_f16 v185, v183, 0xb08e, v182
	v_fma_f16 v181, v183, 0xb08e, -v182
	v_mul_f16_e32 v182, 0x3482, v123
	v_add_f16_e32 v185, v185, v188
	v_add_f16_e32 v181, v181, v184
	v_fma_f16 v184, v179, 0xbbad, -v182
	v_fmac_f16_e32 v182, 0xbbad, v179
	v_fmamk_f16 v188, v183, 0xbbad, v187
	v_add_f16_e32 v184, v184, v189
	v_add_f16_e32 v182, v182, v186
	v_fma_f16 v186, v183, 0xbbad, -v187
	v_mul_f16_e32 v187, 0x3b47, v123
	v_add_f16_e32 v188, v188, v192
	v_add_f16_e32 v186, v186, v190
	v_fma_f16 v189, v179, 0x36a6, -v187
	v_mul_f16_e32 v190, 0x3b47, v122
	v_fmac_f16_e32 v187, 0x36a6, v179
	v_add_f16_e32 v189, v189, v193
	v_fmamk_f16 v192, v183, 0x36a6, v190
	v_add_f16_e32 v187, v187, v191
	v_fma_f16 v190, v183, 0x36a6, -v190
	v_mul_f16_e32 v191, 0xb853, v123
	v_mul_f16_e32 v123, 0xba0c, v123
	v_add_f16_e32 v192, v192, v196
	v_add_f16_e32 v190, v190, v194
	v_fma_f16 v193, v179, 0x3abb, -v191
	v_mul_f16_e32 v194, 0xb853, v122
	v_fmac_f16_e32 v191, 0x3abb, v179
	v_mul_f16_e32 v122, 0xba0c, v122
	v_add_f16_e32 v193, v193, v197
	v_fmamk_f16 v196, v183, 0x3abb, v194
	v_add_f16_e32 v191, v191, v195
	v_fma_f16 v195, v179, 0xb93d, -v123
	v_fmamk_f16 v197, v183, 0xb93d, v122
	v_fmac_f16_e32 v123, 0xb93d, v179
	v_fma_f16 v122, v183, 0xb93d, -v122
	v_add_f16_e32 v179, v102, v104
	v_sub_f16_e32 v102, v102, v104
	v_fma_f16 v194, v183, 0x3abb, -v194
	v_add_f16_e32 v123, v123, v180
	v_add_f16_e32 v34, v122, v34
	;; [unrolled: 1-line block ×3, first 2 shown]
	v_sub_f16_e32 v101, v101, v103
	v_mul_f16_e32 v103, 0xba0c, v102
	v_add_f16_e32 v195, v195, v199
	v_add_f16_e32 v194, v194, v198
	;; [unrolled: 1-line block ×3, first 2 shown]
	v_mul_f16_e32 v183, 0x3beb, v101
	v_fma_f16 v104, v122, 0xb93d, -v103
	v_fmac_f16_e32 v103, 0xb93d, v122
	v_add_f16_e32 v196, v196, v200
	v_add_f16_e32 v104, v104, v178
	v_mul_f16_e32 v178, 0xba0c, v101
	v_add_f16_e32 v103, v103, v124
	v_fmamk_f16 v180, v179, 0xb93d, v178
	v_fma_f16 v124, v179, 0xb93d, -v178
	v_mul_f16_e32 v178, 0x3beb, v102
	v_add_f16_e32 v180, v180, v185
	v_add_f16_e32 v124, v124, v181
	v_fma_f16 v181, v122, 0xb08e, -v178
	v_fmac_f16_e32 v178, 0xb08e, v122
	v_add_f16_e32 v181, v181, v184
	v_fmamk_f16 v184, v179, 0xb08e, v183
	v_add_f16_e32 v178, v178, v182
	v_fma_f16 v182, v179, 0xb08e, -v183
	v_mul_f16_e32 v183, 0xb853, v102
	v_add_f16_e32 v184, v184, v188
	v_add_f16_e32 v182, v182, v186
	v_fma_f16 v185, v122, 0x3abb, -v183
	v_fmac_f16_e32 v183, 0x3abb, v122
	v_mul_f16_e32 v186, 0xb853, v101
	v_add_f16_e32 v185, v185, v189
	v_add_f16_e32 v183, v183, v187
	v_mul_f16_e32 v187, 0xb482, v102
	v_fmamk_f16 v188, v179, 0x3abb, v186
	v_fma_f16 v186, v179, 0x3abb, -v186
	v_mul_f16_e32 v102, 0x3b47, v102
	v_fma_f16 v189, v122, 0xbbad, -v187
	v_fmac_f16_e32 v187, 0xbbad, v122
	v_add_f16_e32 v186, v186, v190
	v_mul_f16_e32 v190, 0xb482, v101
	v_mul_f16_e32 v101, 0x3b47, v101
	v_add_f16_e32 v188, v188, v192
	v_add_f16_e32 v187, v187, v191
	v_fma_f16 v191, v122, 0x36a6, -v102
	v_fmamk_f16 v192, v179, 0xbbad, v190
	v_fma_f16 v190, v179, 0xbbad, -v190
	v_fmac_f16_e32 v102, 0x36a6, v122
	v_add_f16_e32 v189, v189, v193
	v_add_f16_e32 v198, v191, v195
	v_fmamk_f16 v191, v179, 0x36a6, v101
	v_fma_f16 v101, v179, 0x36a6, -v101
	v_add_f16_e32 v179, v98, v100
	v_sub_f16_e32 v98, v98, v100
	v_add_f16_e32 v102, v102, v123
	v_add_f16_e32 v123, v97, v99
	;; [unrolled: 1-line block ×3, first 2 shown]
	v_sub_f16_e32 v97, v97, v99
	v_mul_f16_e32 v34, 0xb482, v98
	v_add_f16_e32 v197, v191, v197
	v_add_f16_e32 v196, v192, v196
	;; [unrolled: 1-line block ×3, first 2 shown]
	v_fma_f16 v99, v123, 0xbbad, -v34
	v_fmac_f16_e32 v34, 0xbbad, v123
	v_add_f16_e32 v211, v99, v104
	v_mul_f16_e32 v99, 0xb482, v97
	v_add_f16_e32 v34, v34, v103
	v_fmamk_f16 v100, v179, 0xbbad, v99
	v_fma_f16 v99, v179, 0xbbad, -v99
	v_add_f16_e32 v212, v100, v180
	v_add_f16_e32 v122, v99, v124
	v_mul_f16_e32 v99, 0x3853, v98
	v_add_f16_e32 v124, v58, v35
	v_pack_b32_f16 v34, v34, v122
	v_fma_f16 v100, v123, 0x3abb, -v99
	v_fmac_f16_e32 v99, 0x3abb, v123
	v_add_f16_e32 v205, v100, v181
	v_mul_f16_e32 v100, 0x3853, v97
	v_add_f16_e32 v191, v99, v178
	v_fma_f16 v99, v179, 0x3abb, -v100
	v_fmamk_f16 v103, v179, 0x3abb, v100
	v_add_f16_e32 v192, v99, v182
	v_mul_f16_e32 v99, 0xba0c, v98
	v_add_f16_e32 v206, v103, v184
	v_fma_f16 v100, v123, 0xb93d, -v99
	v_fmac_f16_e32 v99, 0xb93d, v123
	v_add_f16_e32 v207, v100, v185
	v_mul_f16_e32 v100, 0xba0c, v97
	v_add_f16_e32 v193, v99, v183
	v_fma_f16 v99, v179, 0xb93d, -v100
	v_fmamk_f16 v103, v179, 0xb93d, v100
	v_add_f16_e32 v194, v99, v186
	v_mul_f16_e32 v99, 0x3b47, v98
	v_add_f16_e32 v208, v103, v188
	v_mul_f16_e32 v98, 0xbbeb, v98
	v_sub_f16_e32 v188, v56, v40
	v_fma_f16 v100, v123, 0x36a6, -v99
	v_fmac_f16_e32 v99, 0x36a6, v123
	v_mul_f16_e32 v214, 0xbb47, v188
	v_add_f16_e32 v199, v100, v189
	v_mul_f16_e32 v100, 0x3b47, v97
	v_add_f16_e32 v195, v99, v187
	v_mul_f16_e32 v97, 0xbbeb, v97
	v_sub_f16_e32 v189, v57, v41
	v_fmamk_f16 v103, v179, 0x36a6, v100
	v_fma_f16 v99, v179, 0x36a6, -v100
	v_mul_f16_e32 v213, 0xbb47, v189
	v_add_f16_e32 v200, v103, v196
	v_add_f16_e32 v196, v99, v190
	v_fma_f16 v99, v123, 0xb08e, -v98
	v_fmac_f16_e32 v98, 0xb08e, v123
	v_add_f16_e32 v123, v59, v33
	v_fmamk_f16 v190, v209, 0x36a6, v213
	v_add_f16_e32 v201, v99, v198
	v_fmamk_f16 v99, v179, 0xb08e, v97
	v_fma_f16 v97, v179, 0xb08e, -v97
	v_add_f16_e32 v202, v99, v197
	v_add_f16_e32 v197, v98, v102
	v_sub_f16_e32 v98, v58, v35
	v_add_f16_e32 v198, v97, v101
	v_sub_f16_e32 v97, v59, v33
	v_mul_f16_e32 v203, 0xb853, v98
	v_mul_f16_e32 v101, 0xbb47, v98
	v_mul_f16_e32 v204, 0xb853, v97
	v_mul_f16_e32 v103, 0xbb47, v97
	v_mul_f16_e32 v178, 0xbbeb, v98
	v_fmamk_f16 v99, v123, 0x3abb, v203
	v_fma_f16 v102, v123, 0x36a6, -v101
	v_fma_f16 v100, v124, 0x3abb, -v204
	v_fmac_f16_e32 v101, 0x36a6, v123
	v_fmamk_f16 v104, v124, 0x36a6, v103
	v_add_f16_e32 v99, v32, v99
	v_add_f16_e32 v102, v32, v102
	;; [unrolled: 1-line block ×4, first 2 shown]
	v_fma_f16 v103, v124, 0x36a6, -v103
	v_add_f16_e32 v99, v190, v99
	v_fma_f16 v190, v210, 0x36a6, -v214
	v_fma_f16 v179, v123, 0xb08e, -v178
	v_mul_f16_e32 v180, 0xbbeb, v97
	v_add_f16_e32 v103, v55, v103
	v_fmac_f16_e32 v178, 0xb08e, v123
	v_add_f16_e32 v100, v190, v100
	v_mul_f16_e32 v190, 0xba0c, v189
	v_add_f16_e32 v179, v32, v179
	v_fmamk_f16 v181, v124, 0xb08e, v180
	v_add_f16_e32 v178, v32, v178
	v_fma_f16 v180, v124, 0xb08e, -v180
	v_fma_f16 v215, v209, 0xb93d, -v190
	v_fmac_f16_e32 v190, 0xb93d, v209
	v_mul_f16_e32 v182, 0xba0c, v98
	v_add_f16_e32 v104, v55, v104
	v_add_f16_e32 v180, v55, v180
	;; [unrolled: 1-line block ×3, first 2 shown]
	v_mul_f16_e32 v215, 0xba0c, v188
	v_add_f16_e32 v101, v190, v101
	v_fma_f16 v183, v123, 0xb93d, -v182
	v_mul_f16_e32 v184, 0xba0c, v97
	v_fmac_f16_e32 v182, 0xb93d, v123
	v_fma_f16 v190, v210, 0xb93d, -v215
	v_fmamk_f16 v216, v210, 0xb93d, v215
	v_add_f16_e32 v183, v32, v183
	v_fmamk_f16 v185, v124, 0xb93d, v184
	v_add_f16_e32 v182, v32, v182
	v_add_f16_e32 v103, v190, v103
	v_mul_f16_e32 v190, 0x3482, v189
	v_add_f16_e32 v104, v216, v104
	v_fma_f16 v184, v124, 0xb93d, -v184
	v_mul_f16_e32 v98, 0xb482, v98
	v_mul_f16_e32 v97, 0xb482, v97
	v_fma_f16 v215, v209, 0xbbad, -v190
	v_fmac_f16_e32 v190, 0xbbad, v209
	v_add_f16_e32 v184, v55, v184
	v_fma_f16 v186, v123, 0xbbad, -v98
	v_fmac_f16_e32 v98, 0xbbad, v123
	v_add_f16_e32 v179, v215, v179
	v_mul_f16_e32 v215, 0x3482, v188
	v_add_f16_e32 v178, v190, v178
	v_add_f16_e32 v181, v55, v181
	;; [unrolled: 1-line block ×3, first 2 shown]
	v_fmamk_f16 v187, v124, 0xbbad, v97
	v_fma_f16 v190, v210, 0xbbad, -v215
	v_fmamk_f16 v216, v210, 0xbbad, v215
	v_add_f16_e32 v98, v32, v98
	v_fma_f16 v97, v124, 0xbbad, -v97
	v_add_f16_e32 v185, v55, v185
	v_add_f16_e32 v180, v190, v180
	v_mul_f16_e32 v190, 0x3beb, v189
	v_mul_f16_e32 v189, 0x3853, v189
	v_add_f16_e32 v97, v55, v97
	v_add_f16_e32 v181, v216, v181
	;; [unrolled: 1-line block ×3, first 2 shown]
	v_fma_f16 v215, v209, 0xb08e, -v190
	v_fmac_f16_e32 v190, 0xb08e, v209
	v_add_f16_e32 v183, v215, v183
	v_mul_f16_e32 v215, 0x3beb, v188
	v_add_f16_e32 v182, v190, v182
	v_mul_f16_e32 v188, 0x3853, v188
	v_fma_f16 v190, v210, 0xb08e, -v215
	v_fmamk_f16 v216, v210, 0xb08e, v215
	v_add_f16_e32 v215, v53, v39
	v_add_f16_e32 v184, v190, v184
	v_fma_f16 v190, v209, 0x3abb, -v189
	v_fmac_f16_e32 v189, 0x3abb, v209
	v_add_f16_e32 v185, v216, v185
	v_add_f16_e32 v216, v52, v38
	;; [unrolled: 1-line block ×3, first 2 shown]
	v_fmamk_f16 v190, v210, 0x3abb, v188
	v_add_f16_e32 v98, v189, v98
	v_fma_f16 v188, v210, 0x3abb, -v188
	v_sub_f16_e32 v189, v53, v39
	v_add_f16_e32 v187, v190, v187
	v_add_f16_e32 v97, v188, v97
	v_sub_f16_e32 v188, v52, v38
	v_mul_f16_e32 v217, 0xbbeb, v189
	v_mul_f16_e32 v218, 0xbbeb, v188
	v_fmamk_f16 v190, v216, 0xb08e, v217
	v_add_f16_e32 v99, v190, v99
	v_fma_f16 v190, v215, 0xb08e, -v218
	v_add_f16_e32 v100, v190, v100
	v_mul_f16_e32 v190, 0x3482, v189
	v_fma_f16 v219, v216, 0xbbad, -v190
	v_fmac_f16_e32 v190, 0xbbad, v216
	v_add_f16_e32 v102, v219, v102
	v_mul_f16_e32 v219, 0x3482, v188
	v_add_f16_e32 v101, v190, v101
	v_fma_f16 v190, v215, 0xbbad, -v219
	v_fmamk_f16 v220, v215, 0xbbad, v219
	v_add_f16_e32 v103, v190, v103
	v_mul_f16_e32 v190, 0x3b47, v189
	v_add_f16_e32 v104, v220, v104
	v_fma_f16 v219, v216, 0x36a6, -v190
	v_fmac_f16_e32 v190, 0x36a6, v216
	v_add_f16_e32 v179, v219, v179
	v_mul_f16_e32 v219, 0x3b47, v188
	v_add_f16_e32 v178, v190, v178
	v_fma_f16 v190, v215, 0x36a6, -v219
	v_fmamk_f16 v220, v215, 0x36a6, v219
	v_add_f16_e32 v180, v190, v180
	v_mul_f16_e32 v190, 0xb853, v189
	v_mul_f16_e32 v189, 0xba0c, v189
	v_add_f16_e32 v181, v220, v181
	v_fma_f16 v219, v216, 0x3abb, -v190
	v_fmac_f16_e32 v190, 0x3abb, v216
	v_add_f16_e32 v183, v219, v183
	v_mul_f16_e32 v219, 0xb853, v188
	v_add_f16_e32 v182, v190, v182
	v_mul_f16_e32 v188, 0xba0c, v188
	v_fma_f16 v190, v215, 0x3abb, -v219
	v_fmamk_f16 v220, v215, 0x3abb, v219
	v_add_f16_e32 v219, v48, v44
	v_add_f16_e32 v184, v190, v184
	v_fma_f16 v190, v216, 0xb93d, -v189
	v_fmac_f16_e32 v189, 0xb93d, v216
	v_add_f16_e32 v185, v220, v185
	v_add_f16_e32 v220, v49, v45
	;; [unrolled: 1-line block ×3, first 2 shown]
	v_fmamk_f16 v190, v215, 0xb93d, v188
	v_add_f16_e32 v98, v189, v98
	v_fma_f16 v188, v215, 0xb93d, -v188
	v_sub_f16_e32 v189, v49, v45
	v_add_f16_e32 v187, v190, v187
	v_add_f16_e32 v97, v188, v97
	v_sub_f16_e32 v188, v48, v44
	v_mul_f16_e32 v221, 0xba0c, v189
	v_mul_f16_e32 v222, 0xba0c, v188
	v_fmamk_f16 v190, v219, 0xb93d, v221
	v_add_f16_e32 v99, v190, v99
	v_fma_f16 v190, v220, 0xb93d, -v222
	v_add_f16_e32 v100, v190, v100
	v_mul_f16_e32 v190, 0x3beb, v189
	v_fma_f16 v223, v219, 0xb08e, -v190
	v_fmac_f16_e32 v190, 0xb08e, v219
	v_add_f16_e32 v102, v223, v102
	v_mul_f16_e32 v223, 0x3beb, v188
	v_add_f16_e32 v101, v190, v101
	v_fma_f16 v190, v220, 0xb08e, -v223
	v_fmamk_f16 v224, v220, 0xb08e, v223
	v_add_f16_e32 v103, v190, v103
	v_mul_f16_e32 v190, 0xb853, v189
	v_add_f16_e32 v104, v224, v104
	v_add_f16_e32 v224, v50, v46
	v_fma_f16 v223, v219, 0x3abb, -v190
	v_fmac_f16_e32 v190, 0x3abb, v219
	v_add_f16_e32 v227, v223, v179
	v_mul_f16_e32 v179, 0xb853, v188
	v_add_f16_e32 v190, v190, v178
	v_fma_f16 v178, v220, 0x3abb, -v179
	v_fmamk_f16 v223, v220, 0x3abb, v179
	v_add_f16_e32 v229, v178, v180
	v_mul_f16_e32 v178, 0xb482, v189
	v_add_f16_e32 v228, v223, v181
	v_add_f16_e32 v223, v51, v47
	v_fma_f16 v179, v219, 0xbbad, -v178
	v_fmac_f16_e32 v178, 0xbbad, v219
	v_add_f16_e32 v230, v179, v183
	v_mul_f16_e32 v179, 0xb482, v188
	v_add_f16_e32 v231, v178, v182
	v_fma_f16 v178, v220, 0xbbad, -v179
	v_fmamk_f16 v180, v220, 0xbbad, v179
	v_add_f16_e32 v184, v178, v184
	v_mul_f16_e32 v178, 0x3b47, v189
	v_add_f16_e32 v185, v180, v185
	v_fma_f16 v179, v219, 0x36a6, -v178
	v_fmac_f16_e32 v178, 0x36a6, v219
	v_add_f16_e32 v189, v179, v186
	v_mul_f16_e32 v179, 0x3b47, v188
	v_add_f16_e32 v188, v178, v98
	v_fma_f16 v98, v220, 0x36a6, -v179
	v_fmamk_f16 v180, v220, 0x36a6, v179
	v_add_f16_e32 v232, v98, v97
	v_fmamk_f16 v97, v224, 0xbbad, v225
	v_mul_f16_e32 v98, 0x3853, v234
	v_add_f16_e32 v187, v180, v187
	v_add_f16_e32 v178, v97, v99
	v_fma_f16 v97, v223, 0xbbad, -v226
	v_mul_f16_e32 v99, 0x3853, v233
	v_add_f16_e32 v179, v97, v100
	v_fma_f16 v97, v224, 0x3abb, -v98
	v_fmamk_f16 v100, v223, 0x3abb, v99
	v_fmac_f16_e32 v98, 0x3abb, v224
	v_add_f16_e32 v97, v97, v102
	v_add_f16_e32 v180, v100, v104
	;; [unrolled: 1-line block ×3, first 2 shown]
	v_mul_f16_e32 v101, 0xba0c, v233
	v_fma_f16 v98, v223, 0x3abb, -v99
	v_mul_f16_e32 v104, 0x3b47, v233
	v_mul_f16_e32 v99, 0xba0c, v234
	v_fmamk_f16 v102, v223, 0xb93d, v101
	v_fma_f16 v101, v223, 0xb93d, -v101
	v_add_f16_e32 v181, v98, v103
	v_fma_f16 v98, v224, 0xb93d, -v99
	v_fmac_f16_e32 v99, 0xb93d, v224
	v_add_f16_e32 v182, v102, v228
	v_add_f16_e32 v183, v101, v229
	v_mul_f16_e32 v101, 0x3b47, v234
	v_add_f16_e32 v98, v98, v227
	v_mov_b32_e32 v227, 0x4d
	v_add_f16_e32 v99, v99, v190
	v_fma_f16 v102, v224, 0x36a6, -v101
	v_fmac_f16_e32 v101, 0x36a6, v224
	v_mul_u32_u24_sdwa v64, v64, v227 dst_sel:DWORD dst_unused:UNUSED_PAD src0_sel:WORD_0 src1_sel:DWORD
	v_add_f16_e32 v103, v102, v230
	v_fmamk_f16 v102, v223, 0x36a6, v104
	v_add_f16_e32 v186, v102, v185
	v_add_f16_e32 v102, v101, v231
	v_fma_f16 v101, v223, 0x36a6, -v104
	v_add_f16_e32 v185, v101, v184
	v_mul_f16_e32 v101, 0xbbeb, v234
	v_fma_f16 v104, v224, 0xb08e, -v101
	v_fmac_f16_e32 v101, 0xb08e, v224
	v_add_f16_e32 v104, v104, v189
	v_add_f16_e32 v101, v101, v188
	v_add_lshl_u32 v188, v64, v65, 2
	v_pack_b32_f16 v64, v67, v68
	v_pack_b32_f16 v65, v111, v117
	v_mul_f16_e32 v189, 0xbbeb, v233
	ds_write_b32 v188, v36 offset:280
	v_mul_u32_u24_sdwa v36, v62, v227 dst_sel:DWORD dst_unused:UNUSED_PAD src0_sel:WORD_0 src1_sel:DWORD
	ds_write2_b32 v188, v64, v65 offset1:7
	v_pack_b32_f16 v64, v107, v108
	v_pack_b32_f16 v65, v109, v110
	v_fmamk_f16 v184, v223, 0xb08e, v189
	v_pack_b32_f16 v62, v137, v138
	ds_write2_b32 v188, v64, v65 offset0:14 offset1:21
	v_pack_b32_f16 v64, v83, v84
	v_pack_b32_f16 v65, v85, v86
	v_add_f16_e32 v184, v184, v187
	v_fma_f16 v187, v223, 0xb08e, -v189
	v_add_lshl_u32 v189, v36, v63, 2
	v_pack_b32_f16 v36, v69, v73
	ds_write2_b32 v188, v64, v65 offset0:28 offset1:35
	v_pack_b32_f16 v64, v81, v82
	v_pack_b32_f16 v65, v79, v80
	v_add_f16_e32 v187, v187, v232
	ds_write2_b32 v188, v64, v65 offset0:42 offset1:49
	v_pack_b32_f16 v64, v77, v78
	v_pack_b32_f16 v65, v74, v75
	ds_write2_b32 v188, v64, v65 offset0:56 offset1:63
	ds_write2_b32 v189, v36, v62 offset1:7
	v_pack_b32_f16 v36, v133, v134
	v_pack_b32_f16 v62, v135, v136
	ds_write2_b32 v189, v36, v62 offset0:14 offset1:21
	v_pack_b32_f16 v36, v129, v130
	v_pack_b32_f16 v62, v131, v132
	ds_write2_b32 v189, v36, v62 offset0:28 offset1:35
	v_pack_b32_f16 v36, v127, v128
	v_pack_b32_f16 v62, v125, v126
	ds_write2_b32 v189, v36, v62 offset0:42 offset1:49
	v_pack_b32_f16 v36, v120, v121
	v_pack_b32_f16 v62, v118, v119
	ds_write2_b32 v189, v36, v62 offset0:56 offset1:63
	v_pack_b32_f16 v36, v37, v87
	v_pack_b32_f16 v37, v211, v212
	ds_write_b32 v189, v36 offset:280
	v_mul_u32_u24_sdwa v36, v60, v227 dst_sel:DWORD dst_unused:UNUSED_PAD src0_sel:WORD_0 src1_sel:DWORD
	v_add_lshl_u32 v190, v36, v61, 2
	v_pack_b32_f16 v36, v105, v106
	ds_write_b32 v190, v34 offset:280
	ds_write2_b32 v190, v36, v37 offset1:7
	v_pack_b32_f16 v36, v205, v206
	v_pack_b32_f16 v37, v207, v208
	ds_write2_b32 v190, v36, v37 offset0:14 offset1:21
	v_pack_b32_f16 v36, v199, v200
	v_pack_b32_f16 v37, v201, v202
	ds_write2_b32 v190, v36, v37 offset0:28 offset1:35
	;; [unrolled: 3-line block ×4, first 2 shown]
	s_and_saveexec_b32 s0, vcc_lo
	s_cbranch_execz .LBB0_5
; %bb.4:
	v_add_f16_e32 v59, v32, v59
	v_add_f16_e32 v58, v55, v58
	v_mul_f16_e32 v34, 0x3abb, v123
	v_mul_f16_e32 v36, 0x3abb, v124
	;; [unrolled: 1-line block ×3, first 2 shown]
	v_add_f16_e32 v56, v59, v56
	v_add_f16_e32 v57, v58, v57
	v_sub_f16_e32 v34, v34, v203
	v_mul_f16_e32 v60, 0x36a6, v210
	v_mul_f16_e32 v61, 0xb08e, v216
	v_add_f16_e32 v52, v56, v52
	v_add_f16_e32 v53, v57, v53
	;; [unrolled: 1-line block ×4, first 2 shown]
	v_sub_f16_e32 v34, v37, v213
	v_add_f16_e32 v48, v52, v48
	v_add_f16_e32 v49, v53, v49
	v_mul_f16_e32 v62, 0xb08e, v215
	v_add_f16_e32 v36, v55, v36
	v_add_f16_e32 v55, v214, v60
	;; [unrolled: 1-line block ×5, first 2 shown]
	v_sub_f16_e32 v34, v61, v217
	v_mul_f16_e32 v63, 0xb93d, v219
	v_add_f16_e32 v37, v37, v46
	v_add_f16_e32 v46, v48, v47
	v_mul_f16_e32 v64, 0xb93d, v220
	v_add_f16_e32 v36, v55, v36
	v_add_f16_e32 v49, v218, v62
	;; [unrolled: 1-line block ×5, first 2 shown]
	v_mul_f16_e32 v58, 0xbbad, v224
	v_mul_f16_e32 v59, 0xbbad, v223
	v_add_f16_e32 v36, v49, v36
	v_add_f16_e32 v47, v222, v64
	v_sub_f16_e32 v44, v63, v221
	v_add_f16_e32 v34, v34, v38
	v_add_f16_e32 v37, v37, v39
	;; [unrolled: 1-line block ×5, first 2 shown]
	v_sub_f16_e32 v38, v58, v225
	v_add_f16_e32 v34, v34, v40
	v_add_f16_e32 v37, v37, v41
	;; [unrolled: 1-line block ×3, first 2 shown]
	v_perm_b32 v39, v183, v99, 0x5040100
	v_add_f16_e32 v32, v38, v32
	v_mul_u32_u24_sdwa v38, v177, v227 dst_sel:DWORD dst_unused:UNUSED_PAD src0_sel:WORD_0 src1_sel:DWORD
	v_add_f16_e32 v33, v34, v33
	v_add_f16_e32 v34, v37, v35
	v_perm_b32 v37, v187, v101, 0x5040100
	v_pack_b32_f16 v32, v32, v36
	v_add_lshl_u32 v35, v38, v176, 2
	v_perm_b32 v36, v184, v104, 0x5040100
	v_pack_b32_f16 v33, v33, v34
	v_perm_b32 v34, v180, v97, 0x5040100
	v_perm_b32 v38, v185, v102, 0x5040100
	;; [unrolled: 1-line block ×4, first 2 shown]
	ds_write2_b32 v35, v33, v32 offset1:7
	v_perm_b32 v32, v182, v98, 0x5040100
	v_perm_b32 v33, v186, v103, 0x5040100
	ds_write2_b32 v35, v34, v32 offset0:14 offset1:21
	ds_write2_b32 v35, v33, v36 offset0:28 offset1:35
	ds_write2_b32 v35, v37, v38 offset0:42 offset1:49
	ds_write2_b32 v35, v39, v40 offset0:56 offset1:63
	ds_write_b32 v35, v41 offset:280
.LBB0_5:
	s_or_b32 exec_lo, exec_lo, s0
	v_lshlrev_b32_e32 v73, 4, v172
	s_waitcnt lgkmcnt(0)
	s_barrier
	buffer_gl0_inv
	v_add_co_u32 v36, s0, 0xffffffea, v172
	global_load_dwordx4 v[32:35], v73, s[10:11] offset:280
	v_add_co_ci_u32_e64 v37, null, 0, -1, s0
	v_cmp_gt_u16_e64 s0, 22, v172
	v_add_nc_u32_e32 v119, 0x400, v139
	v_add_nc_u32_e32 v117, 0xc00, v139
	;; [unrolled: 1-line block ×4, first 2 shown]
	v_cndmask_b32_e64 v40, v36, v72, s0
	v_cndmask_b32_e64 v41, v37, v54, s0
	v_mul_lo_u16 v43, 0xd5, v43
	v_mov_b32_e32 v44, 0x1a99
	v_add_co_u32 v86, null, 0x14a, v172
	v_lshlrev_b64 v[36:37], 4, v[40:41]
	v_add_co_u32 v77, null, 0x113, v172
	v_mul_lo_u16 v42, 0xd5, v42
	v_add_nc_u32_e32 v198, 0x800, v139
	v_add_nc_u32_e32 v125, 0x1400, v139
	v_add_co_u32 v36, s0, s10, v36
	v_add_co_ci_u32_e64 v37, s0, s11, v37, s0
	v_cmp_lt_u16_e64 s0, 21, v172
	v_lshrrev_b16 v204, 14, v42
	v_add_nc_u32_e32 v199, 0x200, v139
	global_load_dwordx4 v[48:51], v[36:37], off offset:280
	ds_read2_b32 v[36:37], v119 offset0:74 offset1:129
	ds_read2_b32 v[78:79], v139 offset1:55
	ds_read2_b32 v[80:81], v117 offset0:2 offset1:57
	ds_read2_b32 v[38:39], v118 offset0:76 offset1:131
	;; [unrolled: 1-line block ×3, first 2 shown]
	v_cndmask_b32_e64 v41, 0, 0x181, s0
	v_mul_lo_u16 v42, 0x4d, v204
	v_add_nc_u32_e32 v121, 0xe00, v139
	v_add_nc_u32_e32 v120, 0x1a00, v139
	v_add_lshl_u32 v191, v40, v41, 2
	v_sub_nc_u16 v42, v71, v42
	v_and_b32_e32 v207, 0xff, v42
	s_waitcnt lgkmcnt(4)
	v_lshrrev_b32_e32 v40, 16, v37
	s_waitcnt lgkmcnt(3)
	v_lshrrev_b32_e32 v87, 16, v78
	;; [unrolled: 2-line block ×5, first 2 shown]
	v_lshlrev_b32_e32 v63, 4, v207
	s_waitcnt vmcnt(1)
	v_mul_f16_sdwa v47, v40, v32 dst_sel:DWORD dst_unused:UNUSED_PAD src0_sel:DWORD src1_sel:WORD_1
	v_mul_f16_sdwa v111, v37, v32 dst_sel:DWORD dst_unused:UNUSED_PAD src0_sel:DWORD src1_sel:WORD_1
	;; [unrolled: 1-line block ×8, first 2 shown]
	v_fma_f16 v136, v37, v32, -v47
	v_fmac_f16_e32 v111, v40, v32
	v_fma_f16 v80, v80, v33, -v52
	v_fmac_f16_e32 v124, v41, v33
	;; [unrolled: 2-line block ×3, first 2 shown]
	v_fmac_f16_e32 v135, v46, v35
	v_fma_f16 v82, v82, v35, -v54
	v_add_f16_e32 v37, v78, v136
	v_add_f16_e32 v39, v87, v111
	;; [unrolled: 1-line block ×4, first 2 shown]
	v_sub_f16_e32 v138, v111, v135
	v_sub_f16_e32 v41, v136, v80
	;; [unrolled: 1-line block ×4, first 2 shown]
	v_add_f16_e32 v37, v37, v80
	v_fma_f16 v195, -0.5, v40, v78
	v_fma_f16 v196, -0.5, v52, v87
	v_add_f16_e32 v39, v39, v124
	v_sub_f16_e32 v192, v124, v134
	v_sub_f16_e32 v46, v111, v124
	;; [unrolled: 1-line block ×4, first 2 shown]
	v_add_f16_e32 v200, v41, v45
	v_add_f16_e32 v37, v37, v137
	v_fmamk_f16 v40, v138, 0x3b9c, v195
	v_fmamk_f16 v41, v193, 0xbb9c, v196
	v_add_f16_e32 v39, v39, v134
	v_add_f16_e32 v201, v46, v47
	;; [unrolled: 1-line block ×3, first 2 shown]
	v_fmac_f16_e32 v40, 0x38b4, v192
	v_fmac_f16_e32 v41, 0xb8b4, v194
	v_add_f16_e32 v39, v39, v135
	v_sub_f16_e32 v124, v124, v111
	v_add_f16_e32 v111, v111, v135
	v_fmac_f16_e32 v40, 0x34f2, v200
	v_fmac_f16_e32 v41, 0x34f2, v201
	v_pack_b32_f16 v202, v37, v39
	v_lshrrev_b16 v37, 14, v43
	v_mul_u32_u24_sdwa v39, v86, v44 dst_sel:DWORD dst_unused:UNUSED_PAD src0_sel:WORD_0 src1_sel:DWORD
	ds_read_b32 v43, v139 offset:7480
	v_pack_b32_f16 v203, v40, v41
	v_mul_u32_u24_sdwa v40, v76, v44 dst_sel:DWORD dst_unused:UNUSED_PAD src0_sel:WORD_0 src1_sel:DWORD
	v_mul_lo_u16 v37, 0x4d, v37
	v_lshrrev_b32_e32 v39, 19, v39
	v_mul_u32_u24_sdwa v41, v77, v44 dst_sel:DWORD dst_unused:UNUSED_PAD src0_sel:WORD_0 src1_sel:DWORD
	v_sub_f16_e32 v134, v134, v135
	v_lshrrev_b32_e32 v205, 19, v40
	v_sub_nc_u16 v206, v70, v37
	v_mul_lo_u16 v37, 0x4d, v39
	v_mov_b32_e32 v39, 4
	v_lshrrev_b32_e32 v74, 19, v41
	v_sub_f16_e32 v135, v137, v82
	v_add_f16_e32 v82, v136, v82
	v_sub_nc_u16 v37, v86, v37
	v_lshlrev_b32_sdwa v62, v39, v206 dst_sel:DWORD dst_unused:UNUSED_PAD src0_sel:DWORD src1_sel:BYTE_0
	v_mul_lo_u16 v39, 0x4d, v205
	v_sub_f16_e32 v80, v80, v136
	v_fma_f16 v78, -0.5, v82, v78
	v_lshlrev_b16 v41, 4, v37
	v_fmac_f16_e32 v87, -0.5, v111
	v_sub_nc_u16 v208, v76, v39
	v_mul_lo_u16 v39, 0x4d, v74
	v_fmamk_f16 v82, v192, 0xbb9c, v78
	v_and_b32_e32 v41, 0xffff, v41
	v_fmac_f16_e32 v78, 0x3b9c, v192
	v_add_f16_e32 v80, v80, v135
	v_sub_nc_u16 v75, v77, v39
	v_lshlrev_b16 v39, 4, v208
	v_fmac_f16_e32 v82, 0x38b4, v138
	v_fmac_f16_e32 v78, 0xb8b4, v138
	v_add_f16_e32 v111, v124, v134
	v_lshlrev_b16 v40, 4, v75
	v_and_b32_e32 v39, 0xffff, v39
	v_fmac_f16_e32 v82, 0x34f2, v80
	v_fmac_f16_e32 v78, 0x34f2, v80
	v_fmamk_f16 v80, v194, 0x3b9c, v87
	v_and_b32_e32 v40, 0xffff, v40
	v_add_co_u32 v44, s0, s10, v39
	v_add_co_ci_u32_e64 v45, null, s11, 0, s0
	v_add_co_u32 v46, s0, s10, v40
	v_add_co_ci_u32_e64 v47, null, s11, 0, s0
	;; [unrolled: 2-line block ×3, first 2 shown]
	ds_read2_b32 v[84:85], v139 offset0:110 offset1:165
	ds_read2_b32 v[105:106], v119 offset0:184 offset1:239
	ds_read2_b32 v[107:108], v118 offset0:186 offset1:241
	ds_read2_b32 v[109:110], v117 offset0:112 offset1:167
	ds_read2_b32 v[122:123], v197 offset0:114 offset1:169
	ds_read2_b32 v[126:127], v198 offset0:38 offset1:93
	ds_read2_b32 v[128:129], v125 offset0:40 offset1:95
	ds_read2_b32 v[68:69], v199 offset0:92 offset1:147
	ds_read2_b32 v[130:131], v121 offset0:94 offset1:149
	ds_read2_b32 v[132:133], v120 offset0:96 offset1:151
	ds_read2_b32 v[41:42], v198 offset0:148 offset1:203
	ds_read2_b32 v[39:40], v125 offset0:150 offset1:205
	s_clause 0x4
	global_load_dwordx4 v[56:59], v[44:45], off offset:280
	global_load_dwordx4 v[52:55], v[46:47], off offset:280
	;; [unrolled: 1-line block ×3, first 2 shown]
	global_load_dwordx4 v[64:67], v63, s[10:11] offset:280
	global_load_dwordx4 v[60:63], v62, s[10:11] offset:280
	v_fmac_f16_e32 v87, 0xbb9c, v194
	v_fmac_f16_e32 v80, 0xb8b4, v193
	s_waitcnt vmcnt(0) lgkmcnt(0)
	s_barrier
	buffer_gl0_inv
	v_fmac_f16_e32 v87, 0x38b4, v193
	v_fmac_f16_e32 v80, 0x34f2, v111
	v_lshrrev_b32_e32 v134, 16, v79
	v_mul_f16_sdwa v124, v105, v48 dst_sel:DWORD dst_unused:UNUSED_PAD src0_sel:DWORD src1_sel:WORD_1
	ds_write2_b32 v139, v202, v203 offset1:77
	v_fmac_f16_e32 v87, 0x34f2, v111
	v_pack_b32_f16 v80, v82, v80
	v_lshrrev_b32_e32 v82, 16, v83
	v_lshrrev_b32_e32 v111, 16, v105
	v_fmac_f16_e32 v195, 0xbb9c, v138
	v_pack_b32_f16 v78, v78, v87
	v_fmac_f16_e32 v196, 0x3b9c, v193
	v_mul_f16_sdwa v87, v82, v51 dst_sel:DWORD dst_unused:UNUSED_PAD src0_sel:DWORD src1_sel:WORD_1
	v_fmac_f16_e32 v124, v111, v48
	v_mul_f16_sdwa v111, v111, v48 dst_sel:DWORD dst_unused:UNUSED_PAD src0_sel:DWORD src1_sel:WORD_1
	ds_write2_b32 v139, v80, v78 offset0:154 offset1:231
	v_lshrrev_b32_e32 v78, 16, v81
	v_fma_f16 v87, v83, v51, -v87
	v_mul_f16_sdwa v83, v83, v51 dst_sel:DWORD dst_unused:UNUSED_PAD src0_sel:DWORD src1_sel:WORD_1
	v_fma_f16 v105, v105, v48, -v111
	v_add_f16_e32 v202, v134, v124
	v_mul_f16_sdwa v80, v78, v49 dst_sel:DWORD dst_unused:UNUSED_PAD src0_sel:DWORD src1_sel:WORD_1
	v_fmac_f16_e32 v195, 0xb8b4, v192
	v_fmac_f16_e32 v83, v82, v51
	v_mul_f16_sdwa v82, v107, v50 dst_sel:DWORD dst_unused:UNUSED_PAD src0_sel:DWORD src1_sel:WORD_1
	v_add_f16_e32 v111, v105, v87
	v_fma_f16 v80, v81, v49, -v80
	v_mul_f16_sdwa v81, v81, v49 dst_sel:DWORD dst_unused:UNUSED_PAD src0_sel:DWORD src1_sel:WORD_1
	v_add_f16_e32 v135, v79, v105
	v_add_f16_e32 v137, v124, v83
	v_sub_f16_e32 v212, v124, v83
	v_sub_f16_e32 v213, v105, v87
	v_fmac_f16_e32 v81, v78, v49
	v_lshrrev_b32_e32 v78, 16, v107
	v_fmac_f16_e32 v196, 0x38b4, v194
	v_fmac_f16_e32 v195, 0x34f2, v200
	v_mad_u16 v74, 0x181, v74, v75
	v_lshlrev_b32_e32 v76, 4, v76
	v_fmac_f16_e32 v82, v78, v50
	v_mul_f16_sdwa v78, v78, v50 dst_sel:DWORD dst_unused:UNUSED_PAD src0_sel:DWORD src1_sel:WORD_1
	v_fmac_f16_e32 v196, 0x34f2, v201
	v_lshlrev_b32_e32 v77, 4, v77
	v_sub_f16_e32 v203, v82, v83
	v_fma_f16 v78, v107, v50, -v78
	v_add_f16_e32 v107, v80, v78
	v_sub_f16_e32 v136, v78, v87
	v_sub_f16_e32 v210, v80, v78
	v_fma_f16 v107, -0.5, v107, v79
	v_fmac_f16_e32 v79, -0.5, v111
	v_sub_f16_e32 v111, v80, v105
	v_sub_f16_e32 v105, v105, v80
	v_add_f16_e32 v80, v135, v80
	v_add_f16_e32 v111, v111, v136
	;; [unrolled: 1-line block ×4, first 2 shown]
	v_sub_f16_e32 v78, v87, v78
	v_fma_f16 v136, -0.5, v136, v134
	v_fmac_f16_e32 v134, -0.5, v137
	v_sub_f16_e32 v137, v81, v124
	v_sub_f16_e32 v124, v124, v81
	v_add_f16_e32 v80, v80, v87
	v_fmamk_f16 v87, v213, 0xbb9c, v136
	v_fmamk_f16 v211, v210, 0x3b9c, v134
	v_add_f16_e32 v137, v137, v203
	v_sub_f16_e32 v203, v81, v82
	v_add_f16_e32 v81, v202, v81
	v_fmac_f16_e32 v134, 0xbb9c, v210
	v_add_f16_e32 v78, v105, v78
	v_fmac_f16_e32 v87, 0xb8b4, v210
	v_fmamk_f16 v209, v203, 0xbb9c, v79
	v_add_f16_e32 v81, v81, v82
	v_sub_f16_e32 v82, v83, v82
	v_fmac_f16_e32 v79, 0x3b9c, v203
	v_fmac_f16_e32 v134, 0x38b4, v213
	;; [unrolled: 1-line block ×3, first 2 shown]
	v_add_f16_e32 v81, v81, v83
	v_add_f16_e32 v82, v124, v82
	v_fmac_f16_e32 v79, 0xb8b4, v212
	v_fmac_f16_e32 v211, 0xb8b4, v213
	;; [unrolled: 1-line block ×3, first 2 shown]
	v_pack_b32_f16 v80, v80, v81
	v_fmamk_f16 v81, v212, 0x3b9c, v107
	v_fmac_f16_e32 v87, 0x34f2, v82
	v_fmac_f16_e32 v79, 0x34f2, v111
	v_pack_b32_f16 v83, v195, v196
	v_fmac_f16_e32 v209, 0x34f2, v111
	v_fmac_f16_e32 v81, 0x38b4, v203
	v_fmac_f16_e32 v211, 0x34f2, v137
	v_pack_b32_f16 v79, v79, v134
	v_lshrrev_b32_e32 v105, 16, v109
	v_lshrrev_b32_e32 v111, 16, v108
	v_fmac_f16_e32 v81, 0x34f2, v78
	v_lshrrev_b32_e32 v134, 16, v123
	v_lshrrev_b32_e32 v137, 16, v122
	v_fmac_f16_e32 v107, 0xbb9c, v212
	v_fmac_f16_e32 v136, 0x3b9c, v213
	v_pack_b32_f16 v81, v81, v87
	ds_write_b32 v139, v83 offset:1232
	ds_write2_b32 v191, v80, v81 offset1:77
	v_pack_b32_f16 v80, v209, v211
	v_lshrrev_b32_e32 v83, 16, v110
	v_fmac_f16_e32 v107, 0xb8b4, v203
	v_fmac_f16_e32 v136, 0x38b4, v210
	ds_write2_b32 v191, v80, v79 offset0:154 offset1:231
	v_mov_b32_e32 v79, 0x181
	v_fmac_f16_e32 v107, 0x34f2, v78
	v_fmac_f16_e32 v136, 0x34f2, v82
	v_mul_u32_u24_sdwa v79, v204, v79 dst_sel:DWORD dst_unused:UNUSED_PAD src0_sel:WORD_0 src1_sel:DWORD
	v_add_lshl_u32 v192, v79, v207, 2
	v_lshrrev_b32_e32 v79, 16, v106
	v_mul_f16_sdwa v80, v79, v64 dst_sel:DWORD dst_unused:UNUSED_PAD src0_sel:DWORD src1_sel:WORD_1
	v_mul_f16_sdwa v81, v106, v64 dst_sel:DWORD dst_unused:UNUSED_PAD src0_sel:DWORD src1_sel:WORD_1
	;; [unrolled: 1-line block ×5, first 2 shown]
	v_fma_f16 v80, v106, v64, -v80
	v_mul_f16_sdwa v106, v105, v65 dst_sel:DWORD dst_unused:UNUSED_PAD src0_sel:DWORD src1_sel:WORD_1
	v_fma_f16 v87, v110, v61, -v87
	v_mul_f16_sdwa v110, v110, v61 dst_sel:DWORD dst_unused:UNUSED_PAD src0_sel:DWORD src1_sel:WORD_1
	;; [unrolled: 2-line block ×4, first 2 shown]
	v_fmac_f16_e32 v110, v83, v61
	v_fmac_f16_e32 v81, v79, v64
	;; [unrolled: 1-line block ×3, first 2 shown]
	v_lshrrev_b32_e32 v79, 16, v128
	v_fmac_f16_e32 v109, v105, v65
	v_mul_f16_sdwa v83, v128, v62 dst_sel:DWORD dst_unused:UNUSED_PAD src0_sel:DWORD src1_sel:WORD_1
	v_lshrrev_b32_e32 v105, 16, v126
	v_mul_f16_sdwa v111, v126, v60 dst_sel:DWORD dst_unused:UNUSED_PAD src0_sel:DWORD src1_sel:WORD_1
	v_fma_f16 v135, v123, v63, -v135
	v_mul_f16_sdwa v138, v137, v67 dst_sel:DWORD dst_unused:UNUSED_PAD src0_sel:DWORD src1_sel:WORD_1
	v_fmac_f16_e32 v83, v79, v62
	v_mul_f16_sdwa v79, v79, v62 dst_sel:DWORD dst_unused:UNUSED_PAD src0_sel:DWORD src1_sel:WORD_1
	v_fmac_f16_e32 v111, v105, v60
	v_mul_f16_sdwa v105, v105, v60 dst_sel:DWORD dst_unused:UNUSED_PAD src0_sel:DWORD src1_sel:WORD_1
	v_fma_f16 v138, v122, v67, -v138
	v_mul_f16_sdwa v123, v123, v63 dst_sel:DWORD dst_unused:UNUSED_PAD src0_sel:DWORD src1_sel:WORD_1
	v_fma_f16 v79, v128, v62, -v79
	;; [unrolled: 2-line block ×3, first 2 shown]
	v_sub_f16_e32 v200, v110, v83
	v_fmac_f16_e32 v123, v134, v63
	v_add_f16_e32 v126, v87, v79
	v_fmac_f16_e32 v122, v137, v67
	v_add_f16_e32 v128, v105, v135
	v_lshrrev_b32_e32 v134, 16, v85
	v_add_f16_e32 v137, v85, v105
	v_fma_f16 v126, -0.5, v126, v85
	v_sub_f16_e32 v193, v79, v135
	v_fmac_f16_e32 v85, -0.5, v128
	v_sub_f16_e32 v128, v87, v105
	v_add_f16_e32 v195, v134, v111
	v_sub_f16_e32 v202, v87, v79
	v_sub_f16_e32 v196, v83, v123
	v_fmamk_f16 v201, v200, 0xbb9c, v85
	v_add_f16_e32 v128, v128, v193
	v_add_f16_e32 v193, v110, v83
	v_fmac_f16_e32 v85, 0x3b9c, v200
	v_sub_f16_e32 v207, v111, v123
	v_sub_f16_e32 v209, v105, v135
	v_add_f16_e32 v211, v80, v138
	v_fma_f16 v194, -0.5, v193, v134
	v_add_f16_e32 v193, v111, v123
	v_fmac_f16_e32 v85, 0xb8b4, v207
	v_sub_f16_e32 v78, v81, v109
	v_sub_f16_e32 v82, v122, v108
	v_fma_f16 v211, -0.5, v211, v84
	v_fmac_f16_e32 v134, -0.5, v193
	v_sub_f16_e32 v193, v110, v111
	v_fmac_f16_e32 v85, 0x34f2, v128
	v_add_f16_e32 v78, v78, v82
	v_pack_b32_f16 v82, v107, v136
	v_fmamk_f16 v204, v202, 0x3b9c, v134
	v_fmac_f16_e32 v134, 0xbb9c, v202
	v_add_f16_e32 v196, v193, v196
	v_add_f16_e32 v193, v106, v124
	v_sub_f16_e32 v203, v80, v106
	v_sub_f16_e32 v210, v138, v124
	v_fmac_f16_e32 v134, 0x38b4, v209
	v_sub_f16_e32 v136, v81, v122
	v_fma_f16 v193, -0.5, v193, v84
	v_sub_f16_e32 v213, v80, v138
	v_add_f16_e32 v203, v203, v210
	v_fmac_f16_e32 v134, 0x34f2, v196
	v_sub_f16_e32 v210, v109, v108
	v_fmamk_f16 v212, v136, 0x3b9c, v193
	v_sub_f16_e32 v214, v106, v124
	v_fmac_f16_e32 v193, 0xbb9c, v136
	v_pack_b32_f16 v85, v85, v134
	v_lshrrev_b32_e32 v134, 16, v84
	v_add_f16_e32 v84, v84, v80
	v_fmac_f16_e32 v212, 0x38b4, v210
	v_sub_f16_e32 v80, v106, v80
	v_fmac_f16_e32 v193, 0xb8b4, v210
	v_add_f16_e32 v107, v134, v81
	v_add_f16_e32 v84, v84, v106
	v_fmac_f16_e32 v212, 0x34f2, v203
	v_sub_f16_e32 v106, v108, v122
	v_fmac_f16_e32 v193, 0x34f2, v203
	v_add_f16_e32 v107, v107, v109
	v_add_f16_e32 v84, v84, v124
	v_fmac_f16_e32 v201, 0x38b4, v207
	v_fmac_f16_e32 v204, 0xb8b4, v209
	v_add_f16_e32 v107, v107, v108
	v_add_f16_e32 v84, v84, v138
	v_fmac_f16_e32 v201, 0x34f2, v128
	v_fmac_f16_e32 v204, 0x34f2, v196
	v_add_f16_e32 v107, v107, v122
	v_pack_b32_f16 v84, v84, v107
	v_add_f16_e32 v107, v109, v108
	v_fma_f16 v107, -0.5, v107, v134
	v_fmamk_f16 v215, v213, 0xbb9c, v107
	v_fmac_f16_e32 v107, 0x3b9c, v213
	v_fmac_f16_e32 v215, 0xb8b4, v214
	v_fmac_f16_e32 v107, 0x38b4, v214
	v_fmac_f16_e32 v215, 0x34f2, v78
	v_fmac_f16_e32 v107, 0x34f2, v78
	v_add_f16_e32 v78, v137, v87
	v_pack_b32_f16 v212, v212, v215
	ds_write_b32 v191, v82 offset:1232
	ds_write2_b32 v192, v84, v212 offset1:77
	v_sub_f16_e32 v84, v109, v81
	v_add_f16_e32 v81, v81, v122
	v_sub_f16_e32 v82, v124, v138
	v_add_f16_e32 v78, v78, v79
	v_sub_f16_e32 v79, v135, v79
	v_fmac_f16_e32 v134, -0.5, v81
	v_fmamk_f16 v81, v210, 0xbb9c, v211
	v_fmac_f16_e32 v211, 0x3b9c, v210
	v_add_f16_e32 v80, v80, v82
	v_add_f16_e32 v78, v78, v135
	v_fmamk_f16 v82, v214, 0x3b9c, v134
	v_fmac_f16_e32 v81, 0x38b4, v136
	v_fmac_f16_e32 v211, 0xb8b4, v136
	;; [unrolled: 1-line block ×6, first 2 shown]
	v_add_f16_e32 v80, v84, v106
	v_fmac_f16_e32 v134, 0x38b4, v213
	v_lshrrev_b32_e32 v84, 16, v129
	v_fmac_f16_e32 v82, 0x34f2, v80
	v_fmac_f16_e32 v134, 0x34f2, v80
	v_pack_b32_f16 v80, v81, v82
	v_pack_b32_f16 v81, v211, v134
	v_sub_f16_e32 v82, v111, v110
	ds_write2_b32 v192, v80, v81 offset0:154 offset1:231
	v_add_f16_e32 v81, v195, v110
	v_sub_f16_e32 v80, v105, v87
	v_mul_f16_sdwa v87, v129, v58 dst_sel:DWORD dst_unused:UNUSED_PAD src0_sel:DWORD src1_sel:WORD_1
	v_lshrrev_b32_e32 v110, 16, v68
	v_add_f16_e32 v81, v81, v83
	v_sub_f16_e32 v83, v123, v83
	v_add_f16_e32 v79, v80, v79
	v_fmac_f16_e32 v87, v84, v58
	v_add_f16_e32 v81, v81, v123
	v_add_f16_e32 v80, v82, v83
	v_pack_b32_f16 v82, v193, v107
	v_fmamk_f16 v83, v209, 0xbb9c, v194
	v_fmac_f16_e32 v194, 0x3b9c, v209
	v_pack_b32_f16 v78, v78, v81
	v_fmamk_f16 v81, v207, 0x3b9c, v126
	ds_write_b32 v192, v82 offset:1232
	v_fmac_f16_e32 v83, 0xb8b4, v202
	v_mov_b32_e32 v82, 2
	v_fmac_f16_e32 v126, 0xbb9c, v207
	v_fmac_f16_e32 v81, 0x38b4, v200
	;; [unrolled: 1-line block ×4, first 2 shown]
	v_lshlrev_b32_sdwa v193, v82, v206 dst_sel:DWORD dst_unused:UNUSED_PAD src0_sel:DWORD src1_sel:BYTE_0
	v_fmac_f16_e32 v126, 0xb8b4, v200
	v_fmac_f16_e32 v81, 0x34f2, v79
	;; [unrolled: 1-line block ×3, first 2 shown]
	v_lshrrev_b32_e32 v80, 16, v132
	v_lshlrev_b32_sdwa v195, v82, v74 dst_sel:DWORD dst_unused:UNUSED_PAD src0_sel:DWORD src1_sel:WORD_0
	v_fmac_f16_e32 v126, 0x34f2, v79
	v_pack_b32_f16 v81, v81, v83
	v_add_nc_u32_e32 v83, 0xc00, v193
	v_mul_f16_sdwa v79, v130, v57 dst_sel:DWORD dst_unused:UNUSED_PAD src0_sel:DWORD src1_sel:WORD_1
	v_lshlrev_b32_sdwa v196, v82, v37 dst_sel:DWORD dst_unused:UNUSED_PAD src0_sel:DWORD src1_sel:WORD_0
	v_pack_b32_f16 v108, v126, v194
	ds_write2_b32 v83, v78, v81 offset0:2 offset1:79
	v_pack_b32_f16 v78, v201, v204
	ds_write_b32 v193, v108 offset:4312
	ds_write2_b32 v83, v78, v85 offset0:156 offset1:233
	v_lshrrev_b32_e32 v78, 16, v127
	v_mul_f16_sdwa v83, v127, v56 dst_sel:DWORD dst_unused:UNUSED_PAD src0_sel:DWORD src1_sel:WORD_1
	v_mul_f16_sdwa v85, v84, v58 dst_sel:DWORD dst_unused:UNUSED_PAD src0_sel:DWORD src1_sel:WORD_1
	;; [unrolled: 1-line block ×4, first 2 shown]
	v_fmac_f16_e32 v83, v78, v56
	v_lshrrev_b32_e32 v78, 16, v130
	v_fma_f16 v85, v129, v58, -v85
	v_fmac_f16_e32 v84, v80, v59
	v_fma_f16 v81, v127, v56, -v81
	v_add_f16_e32 v111, v110, v83
	v_fmac_f16_e32 v79, v78, v57
	v_mul_f16_sdwa v78, v78, v57 dst_sel:DWORD dst_unused:UNUSED_PAD src0_sel:DWORD src1_sel:WORD_1
	v_mul_f16_sdwa v80, v80, v59 dst_sel:DWORD dst_unused:UNUSED_PAD src0_sel:DWORD src1_sel:WORD_1
	v_add_f16_e32 v109, v68, v81
	v_sub_f16_e32 v122, v83, v84
	v_add_f16_e32 v111, v111, v79
	v_fma_f16 v78, v130, v57, -v78
	v_fma_f16 v80, v132, v59, -v80
	v_sub_f16_e32 v124, v79, v87
	v_add_f16_e32 v126, v79, v87
	v_add_f16_e32 v111, v111, v87
	;; [unrolled: 1-line block ×3, first 2 shown]
	v_sub_f16_e32 v106, v80, v85
	v_sub_f16_e32 v127, v81, v80
	v_sub_f16_e32 v129, v78, v85
	v_add_f16_e32 v111, v111, v84
	v_add_f16_e32 v109, v109, v85
	v_sub_f16_e32 v105, v81, v78
	v_fma_f16 v126, -0.5, v126, v110
	v_sub_f16_e32 v107, v84, v87
	v_add_f16_e32 v109, v109, v80
	v_add_f16_e32 v105, v105, v106
	v_sub_f16_e32 v106, v83, v79
	v_sub_f16_e32 v79, v79, v83
	v_fmamk_f16 v128, v127, 0xbb9c, v126
	v_pack_b32_f16 v109, v109, v111
	v_add_f16_e32 v111, v78, v85
	v_sub_f16_e32 v85, v85, v80
	v_add_f16_e32 v80, v81, v80
	v_sub_f16_e32 v78, v78, v81
	v_add_f16_e32 v81, v83, v84
	v_fma_f16 v111, -0.5, v111, v68
	v_add_f16_e32 v106, v106, v107
	v_fma_f16 v68, -0.5, v80, v68
	v_add_f16_e32 v78, v78, v85
	v_fmac_f16_e32 v110, -0.5, v81
	v_sub_f16_e32 v81, v87, v84
	v_mad_u16 v107, 0x181, v205, v208
	v_fmamk_f16 v80, v124, 0xbb9c, v68
	v_fmac_f16_e32 v68, 0x3b9c, v124
	v_mul_f16_sdwa v83, v133, v55 dst_sel:DWORD dst_unused:UNUSED_PAD src0_sel:DWORD src1_sel:WORD_1
	v_lshrrev_b32_e32 v84, 16, v39
	v_lshlrev_b32_sdwa v194, v82, v107 dst_sel:DWORD dst_unused:UNUSED_PAD src0_sel:DWORD src1_sel:WORD_0
	v_fmac_f16_e32 v80, 0x38b4, v122
	v_fmac_f16_e32 v68, 0xb8b4, v122
	v_mul_f16_sdwa v85, v39, v54 dst_sel:DWORD dst_unused:UNUSED_PAD src0_sel:DWORD src1_sel:WORD_1
	v_fmamk_f16 v123, v122, 0x3b9c, v111
	v_fmac_f16_e32 v111, 0xbb9c, v122
	v_fmac_f16_e32 v80, 0x34f2, v78
	;; [unrolled: 1-line block ×3, first 2 shown]
	v_add_f16_e32 v78, v79, v81
	v_fmamk_f16 v79, v129, 0x3b9c, v110
	v_fmac_f16_e32 v110, 0xbb9c, v129
	v_fmac_f16_e32 v85, v84, v54
	v_mul_f16_sdwa v84, v84, v54 dst_sel:DWORD dst_unused:UNUSED_PAD src0_sel:DWORD src1_sel:WORD_1
	v_fmac_f16_e32 v123, 0x38b4, v124
	v_fmac_f16_e32 v79, 0xb8b4, v127
	;; [unrolled: 1-line block ×4, first 2 shown]
	v_fma_f16 v39, v39, v54, -v84
	v_fmac_f16_e32 v111, 0xb8b4, v124
	v_fmac_f16_e32 v79, 0x34f2, v78
	;; [unrolled: 1-line block ×6, first 2 shown]
	v_pack_b32_f16 v78, v80, v79
	v_pack_b32_f16 v68, v68, v110
	v_mul_f16_sdwa v79, v131, v53 dst_sel:DWORD dst_unused:UNUSED_PAD src0_sel:DWORD src1_sel:WORD_1
	v_lshrrev_b32_e32 v80, 16, v133
	v_fmac_f16_e32 v111, 0x34f2, v105
	v_lshrrev_b32_e32 v105, 16, v69
	ds_write2_b32 v194, v78, v68 offset0:154 offset1:231
	v_lshrrev_b32_e32 v68, 16, v131
	v_mul_f16_sdwa v81, v80, v55 dst_sel:DWORD dst_unused:UNUSED_PAD src0_sel:DWORD src1_sel:WORD_1
	v_fmac_f16_e32 v83, v80, v55
	v_mul_f16_sdwa v80, v41, v52 dst_sel:DWORD dst_unused:UNUSED_PAD src0_sel:DWORD src1_sel:WORD_1
	v_fmac_f16_e32 v128, 0x34f2, v106
	;; [unrolled: 2-line block ×3, first 2 shown]
	v_lshrrev_b32_e32 v68, 16, v41
	v_fma_f16 v81, v133, v55, -v81
	v_sub_f16_e32 v87, v83, v85
	v_fma_f16 v78, v131, v53, -v78
	v_fmac_f16_e32 v126, 0x34f2, v106
	v_fmac_f16_e32 v80, v68, v52
	v_mul_f16_sdwa v68, v68, v52 dst_sel:DWORD dst_unused:UNUSED_PAD src0_sel:DWORD src1_sel:WORD_1
	v_sub_f16_e32 v84, v81, v39
	v_pack_b32_f16 v123, v123, v128
	v_pack_b32_f16 v75, v111, v126
	v_add_f16_e32 v106, v105, v80
	v_fma_f16 v41, v41, v52, -v68
	v_add_f16_e32 v110, v79, v85
	ds_write2_b32 v194, v109, v123 offset1:77
	v_sub_f16_e32 v123, v78, v39
	v_add_f16_e32 v106, v106, v79
	v_sub_f16_e32 v68, v41, v78
	v_sub_f16_e32 v74, v78, v41
	;; [unrolled: 1-line block ×3, first 2 shown]
	v_fma_f16 v110, -0.5, v110, v105
	v_add_f16_e32 v106, v106, v85
	v_add_f16_e32 v68, v68, v84
	v_sub_f16_e32 v84, v80, v79
	v_sub_f16_e32 v111, v41, v81
	ds_write_b32 v194, v75 offset:1232
	v_add_f16_e32 v106, v106, v83
	v_sub_f16_e32 v75, v79, v80
	v_add_f16_e32 v84, v84, v87
	v_add_f16_e32 v87, v69, v41
	;; [unrolled: 1-line block ×3, first 2 shown]
	v_sub_f16_e32 v79, v85, v83
	v_sub_f16_e32 v107, v80, v83
	v_fmamk_f16 v122, v111, 0xbb9c, v110
	v_add_f16_e32 v87, v87, v78
	v_fmac_f16_e32 v110, 0x3b9c, v111
	v_fmac_f16_e32 v122, 0xb8b4, v123
	v_add_f16_e32 v87, v87, v39
	v_fmac_f16_e32 v110, 0x38b4, v123
	v_fmac_f16_e32 v122, 0x34f2, v84
	v_add_f16_e32 v87, v87, v81
	v_fmac_f16_e32 v110, 0x34f2, v84
	v_pack_b32_f16 v87, v87, v106
	v_add_f16_e32 v106, v78, v39
	v_add_f16_e32 v78, v80, v83
	v_lshrrev_b32_e32 v80, 16, v38
	v_sub_f16_e32 v39, v39, v81
	v_lshrrev_b32_e32 v83, 16, v40
	v_fma_f16 v106, -0.5, v106, v69
	v_fmac_f16_e32 v105, -0.5, v78
	v_lshrrev_b32_e32 v78, 16, v42
	v_fmac_f16_e32 v69, -0.5, v41
	v_add_f16_e32 v41, v75, v79
	v_mul_f16_sdwa v81, v80, v45 dst_sel:DWORD dst_unused:UNUSED_PAD src0_sel:DWORD src1_sel:WORD_1
	v_fmamk_f16 v108, v107, 0x3b9c, v106
	v_mul_f16_sdwa v79, v78, v44 dst_sel:DWORD dst_unused:UNUSED_PAD src0_sel:DWORD src1_sel:WORD_1
	v_add_f16_e32 v39, v74, v39
	v_fmamk_f16 v74, v109, 0xbb9c, v69
	v_fma_f16 v81, v38, v45, -v81
	v_mul_f16_sdwa v38, v38, v45 dst_sel:DWORD dst_unused:UNUSED_PAD src0_sel:DWORD src1_sel:WORD_1
	v_fma_f16 v79, v42, v44, -v79
	v_mul_f16_sdwa v42, v42, v44 dst_sel:DWORD dst_unused:UNUSED_PAD src0_sel:DWORD src1_sel:WORD_1
	v_fmac_f16_e32 v108, 0x38b4, v109
	v_fmac_f16_e32 v69, 0x3b9c, v109
	v_fmamk_f16 v75, v123, 0x3b9c, v105
	v_fmac_f16_e32 v105, 0xbb9c, v123
	v_fmac_f16_e32 v42, v78, v44
	v_lshrrev_b32_e32 v78, 16, v43
	v_mul_f16_sdwa v85, v83, v46 dst_sel:DWORD dst_unused:UNUSED_PAD src0_sel:DWORD src1_sel:WORD_1
	v_fmac_f16_e32 v38, v80, v45
	v_fmac_f16_e32 v108, 0x34f2, v68
	;; [unrolled: 1-line block ×3, first 2 shown]
	v_mul_f16_sdwa v80, v78, v47 dst_sel:DWORD dst_unused:UNUSED_PAD src0_sel:DWORD src1_sel:WORD_1
	v_fmac_f16_e32 v105, 0x38b4, v111
	v_fma_f16 v85, v40, v46, -v85
	v_mul_f16_sdwa v40, v40, v46 dst_sel:DWORD dst_unused:UNUSED_PAD src0_sel:DWORD src1_sel:WORD_1
	v_pack_b32_f16 v108, v108, v122
	v_fma_f16 v80, v43, v47, -v80
	v_mul_f16_sdwa v43, v43, v47 dst_sel:DWORD dst_unused:UNUSED_PAD src0_sel:DWORD src1_sel:WORD_1
	v_fmac_f16_e32 v69, 0x34f2, v39
	v_fmac_f16_e32 v105, 0x34f2, v41
	;; [unrolled: 1-line block ×3, first 2 shown]
	v_add_f16_e32 v83, v79, v80
	v_fmac_f16_e32 v43, v78, v47
	v_add_f16_e32 v78, v81, v85
	v_fmac_f16_e32 v74, 0x38b4, v107
	v_fmac_f16_e32 v75, 0xb8b4, v111
	ds_write2_b32 v195, v87, v108 offset1:77
	v_pack_b32_f16 v69, v69, v105
	v_fma_f16 v78, -0.5, v78, v36
	v_lshrrev_b32_e32 v87, 16, v36
	v_add_f16_e32 v105, v36, v79
	v_fmac_f16_e32 v36, -0.5, v83
	v_sub_f16_e32 v83, v81, v79
	v_sub_f16_e32 v108, v85, v80
	v_fmac_f16_e32 v74, 0x34f2, v39
	v_fmac_f16_e32 v75, 0x34f2, v41
	v_add_f16_e32 v122, v42, v43
	v_add_f16_e32 v124, v87, v42
	;; [unrolled: 1-line block ×4, first 2 shown]
	v_pack_b32_f16 v39, v74, v75
	v_sub_f16_e32 v126, v40, v43
	v_sub_f16_e32 v128, v42, v43
	v_fmac_f16_e32 v106, 0xbb9c, v107
	v_fma_f16 v108, -0.5, v108, v87
	v_fmac_f16_e32 v87, -0.5, v122
	v_sub_f16_e32 v122, v38, v42
	ds_write2_b32 v195, v39, v69 offset0:154 offset1:231
	v_add_f16_e32 v39, v105, v81
	v_add_f16_e32 v69, v124, v38
	v_sub_f16_e32 v131, v79, v80
	v_add_f16_e32 v122, v122, v126
	v_sub_f16_e32 v126, v38, v40
	;; [unrolled: 2-line block ×3, first 2 shown]
	v_add_f16_e32 v42, v69, v40
	v_fmac_f16_e32 v106, 0xb8b4, v109
	v_sub_f16_e32 v40, v43, v40
	v_add_f16_e32 v39, v39, v80
	v_sub_f16_e32 v129, v81, v85
	v_add_f16_e32 v42, v42, v43
	v_fmac_f16_e32 v106, 0x34f2, v68
	v_sub_f16_e32 v41, v79, v81
	v_sub_f16_e32 v68, v80, v85
	v_add_f16_e32 v38, v38, v40
	v_pack_b32_f16 v39, v39, v42
	v_fmamk_f16 v40, v128, 0x3b9c, v78
	v_fmamk_f16 v42, v131, 0xbb9c, v108
	;; [unrolled: 1-line block ×3, first 2 shown]
	v_fmac_f16_e32 v36, 0x3b9c, v126
	v_fmamk_f16 v130, v129, 0x3b9c, v87
	v_fmac_f16_e32 v87, 0xbb9c, v129
	v_add_f16_e32 v41, v41, v68
	v_fmac_f16_e32 v40, 0x38b4, v126
	v_fmac_f16_e32 v42, 0xb8b4, v129
	v_fmac_f16_e32 v36, 0xb8b4, v128
	v_fmac_f16_e32 v87, 0x38b4, v131
	v_pack_b32_f16 v37, v106, v110
	v_fmac_f16_e32 v40, 0x34f2, v41
	v_fmac_f16_e32 v42, 0x34f2, v38
	;; [unrolled: 1-line block ×8, first 2 shown]
	v_pack_b32_f16 v40, v40, v42
	ds_write_b32 v195, v37 offset:1232
	v_add_nc_u32_e32 v37, 0x1800, v196
	v_fmac_f16_e32 v127, 0x34f2, v83
	v_fmac_f16_e32 v130, 0x34f2, v122
	;; [unrolled: 1-line block ×4, first 2 shown]
	v_pack_b32_f16 v36, v36, v87
	ds_write2_b32 v37, v39, v40 offset0:4 offset1:81
	v_pack_b32_f16 v39, v127, v130
	v_fmac_f16_e32 v78, 0x34f2, v41
	v_fmac_f16_e32 v108, 0x34f2, v38
	v_lshlrev_b32_e32 v40, 4, v72
	ds_write2_b32 v37, v39, v36 offset0:158 offset1:235
	v_pack_b32_f16 v36, v78, v108
	ds_write_b32 v196, v36 offset:7392
	s_waitcnt lgkmcnt(0)
	s_barrier
	buffer_gl0_inv
	ds_read2_b32 v[68:69], v117 offset0:2 offset1:57
	s_clause 0x1
	global_load_dwordx4 v[36:39], v73, s[10:11] offset:1512
	global_load_dwordx4 v[40:43], v40, s[10:11] offset:1512
	ds_read2_b32 v[105:106], v119 offset0:74 offset1:129
	ds_read2_b32 v[107:108], v118 offset0:76 offset1:131
	s_waitcnt lgkmcnt(2)
	v_lshrrev_b32_e32 v72, 16, v68
	s_waitcnt vmcnt(1)
	v_mul_f16_sdwa v73, v72, v37 dst_sel:DWORD dst_unused:UNUSED_PAD src0_sel:DWORD src1_sel:WORD_1
	v_mul_f16_sdwa v84, v68, v37 dst_sel:DWORD dst_unused:UNUSED_PAD src0_sel:DWORD src1_sel:WORD_1
	s_waitcnt vmcnt(0)
	v_mul_f16_sdwa v79, v69, v41 dst_sel:DWORD dst_unused:UNUSED_PAD src0_sel:DWORD src1_sel:WORD_1
	s_waitcnt lgkmcnt(1)
	v_mul_f16_sdwa v109, v106, v36 dst_sel:DWORD dst_unused:UNUSED_PAD src0_sel:DWORD src1_sel:WORD_1
	s_waitcnt lgkmcnt(0)
	v_mul_f16_sdwa v110, v108, v38 dst_sel:DWORD dst_unused:UNUSED_PAD src0_sel:DWORD src1_sel:WORD_1
	v_fma_f16 v83, v68, v37, -v73
	v_lshrrev_b32_e32 v73, 16, v69
	v_fmac_f16_e32 v84, v72, v37
	v_mul_f16_sdwa v74, v73, v41 dst_sel:DWORD dst_unused:UNUSED_PAD src0_sel:DWORD src1_sel:WORD_1
	v_fmac_f16_e32 v79, v73, v41
	v_fma_f16 v78, v69, v41, -v74
	ds_read2_b32 v[68:69], v197 offset0:4 offset1:59
	s_waitcnt lgkmcnt(0)
	v_lshrrev_b32_e32 v74, 16, v68
	v_mul_f16_sdwa v87, v68, v39 dst_sel:DWORD dst_unused:UNUSED_PAD src0_sel:DWORD src1_sel:WORD_1
	v_mul_f16_sdwa v81, v69, v43 dst_sel:DWORD dst_unused:UNUSED_PAD src0_sel:DWORD src1_sel:WORD_1
	v_mul_f16_sdwa v75, v74, v39 dst_sel:DWORD dst_unused:UNUSED_PAD src0_sel:DWORD src1_sel:WORD_1
	v_fmac_f16_e32 v87, v74, v39
	v_fma_f16 v85, v68, v39, -v75
	v_lshrrev_b32_e32 v75, 16, v69
	v_lshrrev_b32_e32 v68, 16, v106
	v_mul_f16_sdwa v80, v75, v43 dst_sel:DWORD dst_unused:UNUSED_PAD src0_sel:DWORD src1_sel:WORD_1
	v_fmac_f16_e32 v109, v68, v36
	v_mul_f16_sdwa v68, v68, v36 dst_sel:DWORD dst_unused:UNUSED_PAD src0_sel:DWORD src1_sel:WORD_1
	v_fmac_f16_e32 v81, v75, v43
	v_fma_f16 v80, v69, v43, -v80
	v_lshrrev_b32_e32 v69, 16, v108
	v_fma_f16 v106, v106, v36, -v68
	v_sub_f16_e32 v123, v109, v87
	v_fmac_f16_e32 v110, v69, v38
	v_mul_f16_sdwa v69, v69, v38 dst_sel:DWORD dst_unused:UNUSED_PAD src0_sel:DWORD src1_sel:WORD_1
	v_sub_f16_e32 v68, v106, v83
	v_add_f16_e32 v73, v106, v85
	v_sub_f16_e32 v82, v84, v110
	v_fma_f16 v108, v108, v38, -v69
	v_sub_f16_e32 v69, v85, v108
	v_add_f16_e32 v72, v83, v108
	v_add_f16_e32 v111, v68, v69
	v_sub_f16_e32 v68, v83, v106
	v_sub_f16_e32 v69, v108, v85
	v_add_f16_e32 v122, v68, v69
	ds_read2_b32 v[68:69], v139 offset1:55
	s_waitcnt lgkmcnt(0)
	v_fma_f16 v72, -0.5, v72, v68
	v_fma_f16 v73, -0.5, v73, v68
	v_lshrrev_b32_e32 v202, 16, v69
	v_fmamk_f16 v74, v123, 0x3b9c, v72
	v_fmac_f16_e32 v72, 0xbb9c, v123
	v_fmamk_f16 v75, v82, 0xbb9c, v73
	v_fmac_f16_e32 v73, 0x3b9c, v82
	v_fmac_f16_e32 v74, 0x38b4, v82
	;; [unrolled: 1-line block ×3, first 2 shown]
	v_add_f16_e32 v82, v68, v106
	v_sub_f16_e32 v106, v106, v85
	v_fmac_f16_e32 v73, 0xb8b4, v123
	v_fmac_f16_e32 v74, 0x34f2, v111
	;; [unrolled: 1-line block ×3, first 2 shown]
	v_add_f16_e32 v82, v82, v83
	v_fmac_f16_e32 v75, 0x38b4, v123
	v_fmac_f16_e32 v73, 0x34f2, v122
	v_add_f16_e32 v82, v82, v108
	v_sub_f16_e32 v108, v83, v108
	v_lshrrev_b32_e32 v83, 16, v68
	v_add_f16_e32 v68, v84, v110
	v_fmac_f16_e32 v75, 0x34f2, v122
	v_add_f16_e32 v82, v82, v85
	v_add_f16_e32 v85, v109, v87
	;; [unrolled: 1-line block ×3, first 2 shown]
	v_fma_f16 v68, -0.5, v68, v83
	ds_read2_b32 v[122:123], v118 offset0:186 offset1:241
	v_fmac_f16_e32 v83, -0.5, v85
	v_add_f16_e32 v85, v111, v84
	v_sub_f16_e32 v111, v109, v84
	v_sub_f16_e32 v109, v84, v109
	v_add_f16_e32 v84, v85, v110
	v_sub_f16_e32 v85, v87, v110
	v_sub_f16_e32 v110, v110, v87
	v_add_f16_e32 v84, v84, v87
	v_add_f16_e32 v111, v111, v85
	v_fmamk_f16 v85, v108, 0x3b9c, v83
	v_fmac_f16_e32 v83, 0xbb9c, v108
	v_add_f16_e32 v109, v109, v110
	v_pack_b32_f16 v124, v82, v84
	v_fmamk_f16 v87, v106, 0xbb9c, v68
	v_fmac_f16_e32 v68, 0x3b9c, v106
	v_fmac_f16_e32 v83, 0x38b4, v106
	s_waitcnt lgkmcnt(0)
	v_lshrrev_b32_e32 v84, 16, v122
	v_mul_f16_sdwa v138, v122, v42 dst_sel:DWORD dst_unused:UNUSED_PAD src0_sel:DWORD src1_sel:WORD_1
	v_fmac_f16_e32 v87, 0xb8b4, v108
	v_fmac_f16_e32 v68, 0x38b4, v108
	;; [unrolled: 1-line block ×7, first 2 shown]
	v_pack_b32_f16 v73, v73, v83
	ds_read2_b32 v[82:83], v119 offset0:184 offset1:239
	v_mul_f16_sdwa v84, v84, v42 dst_sel:DWORD dst_unused:UNUSED_PAD src0_sel:DWORD src1_sel:WORD_1
	v_pack_b32_f16 v74, v74, v87
	v_pack_b32_f16 v68, v72, v68
	v_fmac_f16_e32 v85, 0x34f2, v109
	v_sub_f16_e32 v206, v79, v138
	v_fma_f16 v122, v122, v42, -v84
	v_lshrrev_b32_e32 v214, 16, v123
	v_pack_b32_f16 v75, v75, v85
	v_sub_f16_e32 v209, v78, v122
	s_waitcnt lgkmcnt(0)
	v_lshrrev_b32_e32 v72, 16, v82
	v_mul_f16_sdwa v87, v82, v40 dst_sel:DWORD dst_unused:UNUSED_PAD src0_sel:DWORD src1_sel:WORD_1
	v_lshrrev_b32_e32 v212, 16, v83
	v_fmac_f16_e32 v87, v72, v40
	v_mul_f16_sdwa v72, v72, v40 dst_sel:DWORD dst_unused:UNUSED_PAD src0_sel:DWORD src1_sel:WORD_1
	v_add_f16_e32 v84, v202, v87
	v_fma_f16 v82, v82, v40, -v72
	v_sub_f16_e32 v208, v87, v81
	v_add_f16_e32 v84, v84, v79
	v_add_f16_e32 v72, v69, v82
	v_sub_f16_e32 v211, v82, v80
	v_add_f16_e32 v84, v84, v138
	v_add_f16_e32 v72, v72, v78
	;; [unrolled: 1-line block ×5, first 2 shown]
	v_pack_b32_f16 v72, v72, v84
	ds_read2_b32 v[126:127], v139 offset0:110 offset1:165
	ds_read2_b32 v[128:129], v117 offset0:112 offset1:167
	;; [unrolled: 1-line block ×10, first 2 shown]
	ds_write_b32 v139, v74 offset:1540
	ds_write_b32 v139, v75 offset:3080
	;; [unrolled: 1-line block ×4, first 2 shown]
	v_add_f16_e32 v68, v78, v122
	ds_read_b32 v106, v139 offset:7480
	ds_write2_b32 v139, v124, v72 offset1:55
	v_sub_f16_e32 v72, v122, v80
	v_fma_f16 v124, -0.5, v68, v69
	v_add_f16_e32 v68, v82, v80
	v_sub_f16_e32 v80, v80, v122
	s_waitcnt lgkmcnt(15)
	v_lshrrev_b32_e32 v217, 16, v126
	v_fmac_f16_e32 v69, -0.5, v68
	v_sub_f16_e32 v68, v78, v82
	v_sub_f16_e32 v78, v82, v78
	s_waitcnt lgkmcnt(13)
	v_lshrrev_b32_e32 v82, 16, v130
	v_fmamk_f16 v207, v206, 0xbb9c, v69
	v_add_f16_e32 v203, v68, v72
	v_add_f16_e32 v68, v79, v138
	v_sub_f16_e32 v72, v138, v81
	v_fmac_f16_e32 v69, 0x3b9c, v206
	v_add_f16_e32 v78, v78, v80
	v_lshrrev_b32_e32 v80, 16, v128
	v_fma_f16 v204, -0.5, v68, v202
	v_add_f16_e32 v68, v87, v81
	v_fmac_f16_e32 v69, 0xb8b4, v208
	v_sub_f16_e32 v81, v81, v138
	v_fmac_f16_e32 v207, 0x38b4, v208
	v_fmamk_f16 v138, v211, 0xbb9c, v204
	v_fmac_f16_e32 v202, -0.5, v68
	v_sub_f16_e32 v68, v79, v87
	v_fmac_f16_e32 v69, 0x34f2, v203
	v_sub_f16_e32 v79, v87, v79
	v_fmac_f16_e32 v138, 0xb8b4, v209
	v_fmamk_f16 v210, v209, 0x3b9c, v202
	v_fmac_f16_e32 v202, 0xbb9c, v209
	v_add_f16_e32 v205, v68, v72
	v_lshlrev_b32_e32 v68, 4, v71
	v_add_f16_e32 v79, v79, v81
	v_fmac_f16_e32 v204, 0x3b9c, v211
	v_fmac_f16_e32 v202, 0x38b4, v211
	;; [unrolled: 1-line block ×9, first 2 shown]
	v_pack_b32_f16 v202, v69, v202
	v_lshlrev_b32_e32 v69, 4, v70
	s_clause 0x1
	global_load_dwordx4 v[72:75], v68, s[10:11] offset:1512
	global_load_dwordx4 v[68:71], v69, s[10:11] offset:1512
	s_waitcnt vmcnt(1)
	v_mul_f16_sdwa v81, v128, v73 dst_sel:DWORD dst_unused:UNUSED_PAD src0_sel:DWORD src1_sel:WORD_1
	v_mul_f16_sdwa v87, v130, v75 dst_sel:DWORD dst_unused:UNUSED_PAD src0_sel:DWORD src1_sel:WORD_1
	;; [unrolled: 1-line block ×4, first 2 shown]
	v_fmac_f16_e32 v81, v80, v73
	v_mul_f16_sdwa v80, v80, v73 dst_sel:DWORD dst_unused:UNUSED_PAD src0_sel:DWORD src1_sel:WORD_1
	v_fmac_f16_e32 v87, v82, v75
	v_mul_f16_sdwa v82, v82, v75 dst_sel:DWORD dst_unused:UNUSED_PAD src0_sel:DWORD src1_sel:WORD_1
	v_fma_f16 v213, v83, v72, -v213
	v_mul_f16_sdwa v83, v83, v72 dst_sel:DWORD dst_unused:UNUSED_PAD src0_sel:DWORD src1_sel:WORD_1
	v_fma_f16 v215, v123, v74, -v215
	;; [unrolled: 2-line block ×3, first 2 shown]
	v_fma_f16 v82, v130, v75, -v82
	v_fmac_f16_e32 v83, v212, v72
	v_fmac_f16_e32 v123, v214, v74
	v_sub_f16_e32 v122, v213, v80
	v_sub_f16_e32 v128, v82, v215
	;; [unrolled: 1-line block ×5, first 2 shown]
	v_add_f16_e32 v218, v81, v123
	v_add_f16_e32 v122, v122, v128
	v_sub_f16_e32 v128, v83, v81
	v_sub_f16_e32 v216, v81, v123
	;; [unrolled: 1-line block ×3, first 2 shown]
	v_fma_f16 v218, -0.5, v218, v217
	v_sub_f16_e32 v203, v215, v82
	v_add_f16_e32 v128, v128, v130
	v_fmamk_f16 v130, v208, 0x3b9c, v124
	v_fmac_f16_e32 v124, 0xbb9c, v208
	v_fmamk_f16 v220, v219, 0xbb9c, v218
	v_fmac_f16_e32 v218, 0x3b9c, v219
	v_add_f16_e32 v205, v217, v83
	v_fmac_f16_e32 v130, 0x38b4, v206
	v_fmac_f16_e32 v124, 0xb8b4, v206
	;; [unrolled: 1-line block ×4, first 2 shown]
	s_waitcnt lgkmcnt(12)
	v_lshrrev_b32_e32 v208, 16, v133
	v_fmac_f16_e32 v130, 0x34f2, v78
	v_fmac_f16_e32 v124, 0x34f2, v78
	;; [unrolled: 1-line block ×4, first 2 shown]
	s_waitcnt vmcnt(0) lgkmcnt(11)
	v_mul_f16_sdwa v128, v134, v70 dst_sel:DWORD dst_unused:UNUSED_PAD src0_sel:DWORD src1_sel:WORD_1
	v_pack_b32_f16 v130, v130, v138
	v_add_f16_e32 v138, v80, v215
	v_pack_b32_f16 v78, v124, v204
	v_mul_f16_sdwa v124, v129, v69 dst_sel:DWORD dst_unused:UNUSED_PAD src0_sel:DWORD src1_sel:WORD_1
	v_fma_f16 v138, -0.5, v138, v126
	v_fmamk_f16 v214, v212, 0x3b9c, v138
	v_fmac_f16_e32 v138, 0xbb9c, v212
	v_fmac_f16_e32 v214, 0x38b4, v216
	;; [unrolled: 1-line block ×5, first 2 shown]
	v_pack_b32_f16 v214, v214, v220
	v_pack_b32_f16 v79, v138, v218
	ds_write2_b32 v119, v130, v214 offset0:184 offset1:239
	v_sub_f16_e32 v130, v80, v213
	ds_write2_b32 v197, v78, v79 offset0:59 offset1:114
	v_add_f16_e32 v78, v126, v213
	v_add_f16_e32 v79, v205, v81
	;; [unrolled: 1-line block ×4, first 2 shown]
	v_sub_f16_e32 v83, v81, v83
	v_add_f16_e32 v78, v78, v80
	v_add_f16_e32 v79, v79, v123
	v_lshrrev_b32_e32 v80, 16, v129
	v_fmac_f16_e32 v217, -0.5, v203
	v_sub_f16_e32 v203, v123, v87
	v_add_f16_e32 v78, v78, v215
	v_add_f16_e32 v79, v79, v87
	v_mul_f16_sdwa v81, v80, v69 dst_sel:DWORD dst_unused:UNUSED_PAD src0_sel:DWORD src1_sel:WORD_1
	v_fmamk_f16 v214, v221, 0x3b9c, v217
	v_add_f16_e32 v83, v83, v203
	v_pack_b32_f16 v203, v207, v210
	v_add_f16_e32 v207, v213, v82
	v_fmac_f16_e32 v217, 0xbb9c, v221
	v_add_f16_e32 v78, v78, v82
	v_fmac_f16_e32 v124, v80, v69
	v_mul_f16_sdwa v87, v132, v68 dst_sel:DWORD dst_unused:UNUSED_PAD src0_sel:DWORD src1_sel:WORD_1
	v_fma_f16 v207, -0.5, v207, v126
	v_fmac_f16_e32 v217, 0x38b4, v219
	v_pack_b32_f16 v78, v78, v79
	v_lshrrev_b32_e32 v79, 16, v132
	v_lshrrev_b32_e32 v80, 16, v134
	v_fmamk_f16 v210, v216, 0xbb9c, v207
	v_fmac_f16_e32 v207, 0x3b9c, v216
	v_fmac_f16_e32 v214, 0xb8b4, v219
	;; [unrolled: 1-line block ×6, first 2 shown]
	v_mul_f16_sdwa v79, v79, v68 dst_sel:DWORD dst_unused:UNUSED_PAD src0_sel:DWORD src1_sel:WORD_1
	v_fmac_f16_e32 v128, v80, v70
	v_mul_f16_sdwa v80, v80, v70 dst_sel:DWORD dst_unused:UNUSED_PAD src0_sel:DWORD src1_sel:WORD_1
	v_fmac_f16_e32 v210, 0x34f2, v130
	v_fmac_f16_e32 v207, 0x34f2, v130
	;; [unrolled: 1-line block ×3, first 2 shown]
	v_fma_f16 v122, v129, v69, -v81
	v_lshrrev_b32_e32 v81, 16, v131
	v_mul_f16_sdwa v126, v131, v71 dst_sel:DWORD dst_unused:UNUSED_PAD src0_sel:DWORD src1_sel:WORD_1
	v_pack_b32_f16 v83, v207, v217
	v_fma_f16 v129, v132, v68, -v79
	v_fma_f16 v130, v134, v70, -v80
	v_lshrrev_b32_e32 v80, 16, v127
	v_fmac_f16_e32 v126, v81, v71
	ds_write2_b32 v118, v202, v83 offset0:186 offset1:241
	v_mul_f16_sdwa v83, v81, v71 dst_sel:DWORD dst_unused:UNUSED_PAD src0_sel:DWORD src1_sel:WORD_1
	v_add_f16_e32 v79, v127, v129
	v_add_f16_e32 v81, v80, v87
	v_pack_b32_f16 v210, v210, v214
	v_sub_f16_e32 v202, v124, v128
	v_fma_f16 v123, v131, v71, -v83
	v_add_f16_e32 v79, v79, v122
	v_add_f16_e32 v81, v81, v124
	ds_write2_b32 v117, v203, v210 offset0:57 offset1:112
	v_sub_f16_e32 v205, v122, v130
	v_sub_f16_e32 v204, v87, v126
	v_add_f16_e32 v79, v79, v130
	v_add_f16_e32 v81, v81, v128
	v_sub_f16_e32 v207, v129, v123
	v_lshrrev_b32_e32 v210, 16, v135
	v_add_f16_e32 v79, v79, v123
	v_add_f16_e32 v81, v81, v126
	v_pack_b32_f16 v79, v79, v81
	ds_write2_b32 v139, v78, v79 offset0:110 offset1:165
	v_add_f16_e32 v78, v122, v130
	v_sub_f16_e32 v79, v130, v123
	v_fma_f16 v131, -0.5, v78, v127
	v_add_f16_e32 v78, v129, v123
	v_sub_f16_e32 v123, v123, v130
	v_fmac_f16_e32 v127, -0.5, v78
	v_sub_f16_e32 v78, v122, v129
	v_sub_f16_e32 v122, v129, v122
	v_fmamk_f16 v203, v202, 0xbb9c, v127
	v_add_f16_e32 v132, v78, v79
	v_add_f16_e32 v78, v124, v128
	v_sub_f16_e32 v79, v128, v126
	v_fmac_f16_e32 v127, 0x3b9c, v202
	v_add_f16_e32 v122, v122, v123
	v_sub_f16_e32 v123, v126, v128
	v_fma_f16 v134, -0.5, v78, v80
	v_add_f16_e32 v78, v87, v126
	v_fmac_f16_e32 v127, 0xb8b4, v204
	s_waitcnt lgkmcnt(13)
	v_lshrrev_b32_e32 v126, 16, v200
	v_fmac_f16_e32 v203, 0x38b4, v204
	v_fmac_f16_e32 v80, -0.5, v78
	v_sub_f16_e32 v78, v124, v87
	v_fmac_f16_e32 v127, 0x34f2, v132
	v_sub_f16_e32 v87, v87, v124
	v_fmamk_f16 v124, v204, 0x3b9c, v131
	v_fmamk_f16 v206, v205, 0x3b9c, v80
	v_fmac_f16_e32 v80, 0xbb9c, v205
	v_add_f16_e32 v138, v78, v79
	v_fmac_f16_e32 v131, 0xbb9c, v204
	v_add_f16_e32 v87, v87, v123
	v_fmamk_f16 v123, v207, 0xbb9c, v134
	v_fmac_f16_e32 v80, 0x38b4, v207
	v_fmac_f16_e32 v134, 0x3b9c, v207
	;; [unrolled: 1-line block ×10, first 2 shown]
	v_pack_b32_f16 v127, v127, v80
	s_clause 0x1
	global_load_dwordx4 v[80:83], v76, s[10:11] offset:1512
	global_load_dwordx4 v[76:79], v77, s[10:11] offset:1512
	v_fmac_f16_e32 v134, 0x34f2, v87
	v_lshrrev_b32_e32 v87, 16, v136
	v_fmac_f16_e32 v206, 0xb8b4, v207
	v_fmac_f16_e32 v203, 0x34f2, v132
	v_pack_b32_f16 v123, v124, v123
	v_pack_b32_f16 v131, v131, v134
	v_fmac_f16_e32 v206, 0x34f2, v138
	s_waitcnt vmcnt(1)
	v_mul_f16_sdwa v122, v136, v81 dst_sel:DWORD dst_unused:UNUSED_PAD src0_sel:DWORD src1_sel:WORD_1
	v_mul_f16_sdwa v128, v200, v83 dst_sel:DWORD dst_unused:UNUSED_PAD src0_sel:DWORD src1_sel:WORD_1
	;; [unrolled: 1-line block ×4, first 2 shown]
	v_fmac_f16_e32 v122, v87, v81
	v_mul_f16_sdwa v87, v87, v81 dst_sel:DWORD dst_unused:UNUSED_PAD src0_sel:DWORD src1_sel:WORD_1
	v_fmac_f16_e32 v128, v126, v83
	v_mul_f16_sdwa v126, v126, v83 dst_sel:DWORD dst_unused:UNUSED_PAD src0_sel:DWORD src1_sel:WORD_1
	v_fma_f16 v209, v133, v80, -v209
	v_mul_f16_sdwa v133, v133, v80 dst_sel:DWORD dst_unused:UNUSED_PAD src0_sel:DWORD src1_sel:WORD_1
	v_fma_f16 v211, v135, v82, -v211
	;; [unrolled: 2-line block ×3, first 2 shown]
	v_fma_f16 v126, v200, v83, -v126
	v_fmac_f16_e32 v133, v208, v80
	v_lshrrev_b32_e32 v200, 16, v84
	v_fmac_f16_e32 v135, v210, v82
	v_sub_f16_e32 v129, v209, v87
	v_sub_f16_e32 v130, v126, v211
	v_add_f16_e32 v124, v87, v211
	v_sub_f16_e32 v134, v133, v128
	v_sub_f16_e32 v132, v128, v135
	v_add_f16_e32 v202, v122, v135
	v_add_f16_e32 v129, v129, v130
	v_sub_f16_e32 v130, v133, v122
	v_fma_f16 v124, -0.5, v124, v84
	v_sub_f16_e32 v138, v122, v135
	v_fma_f16 v202, -0.5, v202, v200
	v_sub_f16_e32 v205, v87, v211
	v_add_f16_e32 v130, v130, v132
	v_pack_b32_f16 v132, v203, v206
	v_sub_f16_e32 v203, v209, v126
	v_fmamk_f16 v136, v134, 0x3b9c, v124
	v_lshrrev_b32_e32 v206, 16, v85
	v_add_f16_e32 v219, v209, v126
	v_fmac_f16_e32 v124, 0xbb9c, v134
	v_fmamk_f16 v204, v203, 0xbb9c, v202
	v_fmac_f16_e32 v136, 0x38b4, v138
	v_fmac_f16_e32 v202, 0x3b9c, v203
	v_fma_f16 v219, -0.5, v219, v84
	v_add_f16_e32 v84, v84, v209
	v_fmac_f16_e32 v204, 0xb8b4, v205
	v_fmac_f16_e32 v136, 0x34f2, v129
	;; [unrolled: 1-line block ×4, first 2 shown]
	v_add_f16_e32 v84, v84, v87
	v_fmac_f16_e32 v204, 0x34f2, v130
	v_fmac_f16_e32 v124, 0x34f2, v129
	;; [unrolled: 1-line block ×3, first 2 shown]
	v_add_f16_e32 v84, v84, v211
	v_pack_b32_f16 v136, v136, v204
	ds_write_b32 v139, v132 offset:3740
	ds_write_b32 v139, v127 offset:5280
	;; [unrolled: 1-line block ×3, first 2 shown]
	ds_write2_b32 v198, v123, v136 offset0:38 offset1:93
	v_lshrrev_b32_e32 v123, 16, v137
	v_lshrrev_b32_e32 v132, 16, v201
	s_waitcnt vmcnt(0)
	v_mul_f16_sdwa v131, v137, v77 dst_sel:DWORD dst_unused:UNUSED_PAD src0_sel:DWORD src1_sel:WORD_1
	s_waitcnt lgkmcnt(16)
	v_mul_f16_sdwa v204, v110, v76 dst_sel:DWORD dst_unused:UNUSED_PAD src0_sel:DWORD src1_sel:WORD_1
	v_add_f16_e32 v84, v84, v126
	v_mul_f16_sdwa v127, v123, v77 dst_sel:DWORD dst_unused:UNUSED_PAD src0_sel:DWORD src1_sel:WORD_1
	v_mul_f16_sdwa v136, v132, v79 dst_sel:DWORD dst_unused:UNUSED_PAD src0_sel:DWORD src1_sel:WORD_1
	v_fmac_f16_e32 v131, v123, v77
	s_waitcnt lgkmcnt(15)
	v_lshrrev_b32_e32 v123, 16, v108
	v_lshrrev_b32_e32 v129, 16, v109
	v_fma_f16 v127, v137, v77, -v127
	v_mul_f16_sdwa v137, v201, v79 dst_sel:DWORD dst_unused:UNUSED_PAD src0_sel:DWORD src1_sel:WORD_1
	v_fma_f16 v136, v201, v79, -v136
	v_lshrrev_b32_e32 v201, 16, v110
	v_fmac_f16_e32 v137, v132, v79
	v_mul_f16_sdwa v132, v108, v78 dst_sel:DWORD dst_unused:UNUSED_PAD src0_sel:DWORD src1_sel:WORD_1
	v_fmac_f16_e32 v204, v201, v76
	v_mul_f16_sdwa v201, v201, v76 dst_sel:DWORD dst_unused:UNUSED_PAD src0_sel:DWORD src1_sel:WORD_1
	;; [unrolled: 2-line block ×3, first 2 shown]
	v_fma_f16 v110, v110, v76, -v201
	v_add_f16_e32 v210, v204, v137
	v_add_f16_e32 v212, v206, v204
	v_sub_f16_e32 v213, v132, v137
	v_fma_f16 v108, v108, v78, -v123
	v_add_f16_e32 v201, v110, v136
	v_add_f16_e32 v207, v85, v110
	v_sub_f16_e32 v215, v204, v137
	v_sub_f16_e32 v218, v110, v136
	v_add_f16_e32 v123, v127, v108
	v_sub_f16_e32 v208, v108, v136
	v_sub_f16_e32 v216, v127, v108
	v_fma_f16 v123, -0.5, v123, v85
	v_fmac_f16_e32 v85, -0.5, v201
	v_sub_f16_e32 v201, v127, v110
	v_sub_f16_e32 v110, v110, v127
	v_add_f16_e32 v201, v201, v208
	v_add_f16_e32 v208, v131, v132
	v_fma_f16 v208, -0.5, v208, v206
	v_fmac_f16_e32 v206, -0.5, v210
	v_sub_f16_e32 v210, v131, v204
	v_fmamk_f16 v217, v216, 0x3b9c, v206
	v_add_f16_e32 v210, v210, v213
	v_sub_f16_e32 v213, v131, v132
	v_fmac_f16_e32 v206, 0xbb9c, v216
	v_fmac_f16_e32 v217, 0xb8b4, v218
	v_fmamk_f16 v214, v213, 0xbb9c, v85
	v_fmac_f16_e32 v85, 0x3b9c, v213
	v_fmac_f16_e32 v206, 0x38b4, v218
	;; [unrolled: 1-line block ×8, first 2 shown]
	v_pack_b32_f16 v206, v85, v206
	v_add_f16_e32 v85, v200, v133
	v_add_f16_e32 v85, v85, v122
	;; [unrolled: 1-line block ×4, first 2 shown]
	v_pack_b32_f16 v84, v84, v85
	v_add_f16_e32 v85, v207, v127
	v_add_f16_e32 v207, v212, v131
	v_sub_f16_e32 v127, v204, v131
	v_sub_f16_e32 v131, v137, v132
	v_add_f16_e32 v85, v85, v108
	v_add_f16_e32 v207, v207, v132
	v_sub_f16_e32 v108, v136, v108
	v_fmamk_f16 v132, v218, 0xbb9c, v208
	v_fmac_f16_e32 v208, 0x3b9c, v218
	v_add_f16_e32 v85, v85, v136
	v_add_f16_e32 v207, v207, v137
	;; [unrolled: 1-line block ×3, first 2 shown]
	v_fmamk_f16 v110, v215, 0x3b9c, v123
	v_fmac_f16_e32 v123, 0xbb9c, v215
	v_add_f16_e32 v127, v127, v131
	v_pack_b32_f16 v85, v85, v207
	v_fmac_f16_e32 v132, 0xb8b4, v216
	v_fmac_f16_e32 v110, 0x38b4, v213
	;; [unrolled: 1-line block ×4, first 2 shown]
	ds_write2_b32 v199, v84, v85 offset0:92 offset1:147
	v_sub_f16_e32 v84, v87, v209
	v_sub_f16_e32 v85, v211, v126
	v_fmamk_f16 v87, v138, 0xbb9c, v219
	v_fmac_f16_e32 v219, 0x3b9c, v138
	v_fmac_f16_e32 v110, 0x34f2, v108
	;; [unrolled: 1-line block ×3, first 2 shown]
	v_add_f16_e32 v84, v84, v85
	v_add_f16_e32 v85, v133, v128
	v_fmac_f16_e32 v219, 0xb8b4, v134
	v_fmac_f16_e32 v87, 0x38b4, v134
	;; [unrolled: 1-line block ×4, first 2 shown]
	v_fmac_f16_e32 v200, -0.5, v85
	v_sub_f16_e32 v85, v122, v133
	v_sub_f16_e32 v122, v135, v128
	v_fmac_f16_e32 v219, 0x34f2, v84
	v_fmac_f16_e32 v87, 0x34f2, v84
	v_fmamk_f16 v126, v205, 0x3b9c, v200
	v_fmac_f16_e32 v200, 0xbb9c, v205
	v_add_f16_e32 v85, v85, v122
	v_pack_b32_f16 v122, v214, v217
	v_lshrrev_b32_e32 v133, 16, v105
	v_fmac_f16_e32 v126, 0xb8b4, v203
	v_fmac_f16_e32 v200, 0x38b4, v203
	;; [unrolled: 1-line block ×4, first 2 shown]
	v_pack_b32_f16 v85, v87, v126
	v_pack_b32_f16 v84, v219, v200
	;; [unrolled: 1-line block ×3, first 2 shown]
	ds_write_b32 v139, v84 offset:5500
	ds_write_b32 v139, v87 offset:7040
	ds_write2_b32 v121, v85, v122 offset0:94 offset1:149
	v_lshlrev_b32_e32 v84, 4, v86
	v_lshrrev_b32_e32 v122, 16, v111
	v_lshrrev_b32_e32 v126, 16, v107
	global_load_dwordx4 v[84:87], v84, s[10:11] offset:1512
	s_waitcnt vmcnt(0)
	v_mul_f16_sdwa v124, v122, v84 dst_sel:DWORD dst_unused:UNUSED_PAD src0_sel:DWORD src1_sel:WORD_1
	v_mul_f16_sdwa v128, v126, v85 dst_sel:DWORD dst_unused:UNUSED_PAD src0_sel:DWORD src1_sel:WORD_1
	v_mul_f16_sdwa v130, v129, v86 dst_sel:DWORD dst_unused:UNUSED_PAD src0_sel:DWORD src1_sel:WORD_1
	v_fma_f16 v124, v111, v84, -v124
	v_mul_f16_sdwa v111, v111, v84 dst_sel:DWORD dst_unused:UNUSED_PAD src0_sel:DWORD src1_sel:WORD_1
	v_fma_f16 v128, v107, v85, -v128
	v_mul_f16_sdwa v107, v107, v85 dst_sel:DWORD dst_unused:UNUSED_PAD src0_sel:DWORD src1_sel:WORD_1
	;; [unrolled: 2-line block ×3, first 2 shown]
	v_fmac_f16_e32 v111, v122, v84
	s_waitcnt lgkmcnt(14)
	v_lshrrev_b32_e32 v122, 16, v106
	v_fmac_f16_e32 v107, v126, v85
	v_add_f16_e32 v134, v105, v124
	v_fmac_f16_e32 v109, v129, v86
	v_add_f16_e32 v200, v133, v111
	v_mul_f16_sdwa v126, v122, v87 dst_sel:DWORD dst_unused:UNUSED_PAD src0_sel:DWORD src1_sel:WORD_1
	v_sub_f16_e32 v205, v128, v130
	v_add_f16_e32 v108, v134, v128
	v_fma_f16 v126, v106, v87, -v126
	v_mul_f16_sdwa v106, v106, v87 dst_sel:DWORD dst_unused:UNUSED_PAD src0_sel:DWORD src1_sel:WORD_1
	v_add_f16_e32 v108, v108, v130
	v_add_f16_e32 v129, v124, v126
	v_fmac_f16_e32 v106, v122, v87
	v_add_f16_e32 v122, v128, v130
	v_sub_f16_e32 v135, v130, v126
	v_sub_f16_e32 v209, v124, v126
	;; [unrolled: 1-line block ×3, first 2 shown]
	v_add_f16_e32 v138, v111, v106
	v_fma_f16 v122, -0.5, v122, v105
	v_fmac_f16_e32 v105, -0.5, v129
	v_sub_f16_e32 v129, v128, v124
	v_sub_f16_e32 v201, v109, v106
	v_add_f16_e32 v108, v108, v126
	v_add_f16_e32 v126, v200, v107
	v_sub_f16_e32 v203, v111, v106
	v_add_f16_e32 v129, v129, v135
	v_add_f16_e32 v135, v107, v109
	v_sub_f16_e32 v124, v124, v128
	v_fma_f16 v135, -0.5, v135, v133
	v_fmac_f16_e32 v133, -0.5, v138
	v_sub_f16_e32 v138, v107, v111
	v_fmamk_f16 v207, v205, 0x3b9c, v133
	v_add_f16_e32 v138, v138, v201
	v_sub_f16_e32 v201, v107, v109
	v_sub_f16_e32 v107, v111, v107
	v_add_f16_e32 v111, v126, v109
	v_sub_f16_e32 v109, v106, v109
	v_fmac_f16_e32 v133, 0xbb9c, v205
	v_fmamk_f16 v202, v201, 0xbb9c, v105
	v_fmac_f16_e32 v105, 0x3b9c, v201
	v_add_f16_e32 v106, v111, v106
	v_add_f16_e32 v107, v107, v109
	v_pack_b32_f16 v109, v110, v132
	v_pack_b32_f16 v110, v123, v208
	v_fmamk_f16 v123, v209, 0xbb9c, v135
	v_pack_b32_f16 v106, v108, v106
	v_fmamk_f16 v108, v203, 0x3b9c, v122
	v_fmac_f16_e32 v122, 0xbb9c, v203
	v_fmac_f16_e32 v135, 0x3b9c, v209
	v_add_f16_e32 v111, v124, v127
	v_fmac_f16_e32 v123, 0xb8b4, v205
	v_fmac_f16_e32 v108, 0x38b4, v201
	;; [unrolled: 1-line block ×16, first 2 shown]
	v_pack_b32_f16 v108, v108, v123
	ds_write_b32 v139, v206 offset:5720
	ds_write_b32 v139, v110 offset:7260
	ds_write_b32 v139, v106 offset:1320
	ds_write2_b32 v198, v109, v108 offset0:148 offset1:203
	v_pack_b32_f16 v106, v202, v207
	v_pack_b32_f16 v105, v105, v133
	;; [unrolled: 1-line block ×3, first 2 shown]
	ds_write_b32 v139, v106 offset:4400
	ds_write_b32 v139, v105 offset:5940
	;; [unrolled: 1-line block ×3, first 2 shown]
	v_lshlrev_b32_e32 v105, 2, v172
	s_waitcnt lgkmcnt(0)
	s_barrier
	buffer_gl0_inv
	v_add_co_u32 v105, s0, s8, v105
	v_add_co_ci_u32_e64 v106, null, s9, 0, s0
	v_add_co_u32 v107, s0, 0x1800, v105
	v_add_co_ci_u32_e64 v108, s0, 0, v106, s0
	global_load_dword v107, v[107:108], off offset:1556
	v_add_co_u32 v108, s0, 0x2000, v105
	v_add_co_ci_u32_e64 v109, s0, 0, v106, s0
	s_clause 0x1
	global_load_dword v124, v[108:109], off offset:1708
	global_load_dword v133, v[108:109], off offset:1928
	ds_read2_b32 v[122:123], v139 offset1:55
	v_add_co_u32 v108, s0, 0x2800, v105
	v_add_co_ci_u32_e64 v109, s0, 0, v106, s0
	v_add_co_u32 v110, s0, 0x1e14, v105
	v_add_co_ci_u32_e64 v111, s0, 0, v106, s0
	s_clause 0x3
	global_load_dword v129, v[108:109], off offset:540
	global_load_dword v134, v[108:109], off offset:760
	;; [unrolled: 1-line block ×4, first 2 shown]
	s_waitcnt lgkmcnt(0)
	v_lshrrev_b32_e32 v126, 16, v122
	s_waitcnt vmcnt(6)
	v_mul_f16_sdwa v127, v122, v107 dst_sel:DWORD dst_unused:UNUSED_PAD src0_sel:DWORD src1_sel:WORD_1
	v_fmac_f16_e32 v127, v126, v107
	v_mul_f16_sdwa v126, v126, v107 dst_sel:DWORD dst_unused:UNUSED_PAD src0_sel:DWORD src1_sel:WORD_1
	v_fma_f16 v107, v122, v107, -v126
	v_pack_b32_f16 v107, v107, v127
	ds_write_b32 v139, v107
	global_load_dword v107, v[108:109], off offset:320
	ds_read2_b32 v[126:127], v198 offset0:148 offset1:203
	s_waitcnt lgkmcnt(0)
	v_lshrrev_b32_e32 v122, 16, v127
	s_waitcnt vmcnt(0)
	v_mul_f16_sdwa v130, v127, v107 dst_sel:DWORD dst_unused:UNUSED_PAD src0_sel:DWORD src1_sel:WORD_1
	v_fmac_f16_e32 v130, v122, v107
	v_mul_f16_sdwa v122, v122, v107 dst_sel:DWORD dst_unused:UNUSED_PAD src0_sel:DWORD src1_sel:WORD_1
	v_fma_f16 v107, v127, v107, -v122
	ds_read2_b32 v[127:128], v117 offset0:2 offset1:57
	v_pack_b32_f16 v107, v107, v130
	s_waitcnt lgkmcnt(0)
	v_lshrrev_b32_e32 v122, 16, v127
	v_mul_f16_sdwa v131, v127, v129 dst_sel:DWORD dst_unused:UNUSED_PAD src0_sel:DWORD src1_sel:WORD_1
	v_fmac_f16_e32 v131, v122, v129
	v_mul_f16_sdwa v122, v122, v129 dst_sel:DWORD dst_unused:UNUSED_PAD src0_sel:DWORD src1_sel:WORD_1
	v_fma_f16 v122, v127, v129, -v122
	v_add_co_u32 v129, s0, 0x3800, v105
	v_add_nc_u32_e32 v127, 0xa00, v139
	v_add_co_ci_u32_e64 v130, s0, 0, v106, s0
	v_pack_b32_f16 v122, v122, v131
	v_add_co_u32 v105, s0, 0x3000, v105
	v_add_co_ci_u32_e64 v106, s0, 0, v106, s0
	ds_write2_b32 v127, v107, v122 offset0:75 offset1:130
	s_clause 0x1
	global_load_dword v107, v[129:130], off offset:844
	global_load_dword v122, v[129:130], off offset:624
	ds_read_b32 v127, v139 offset:7480
	global_load_dword v138, v[129:130], off offset:404
	s_waitcnt lgkmcnt(0)
	v_lshrrev_b32_e32 v131, 16, v127
	s_waitcnt vmcnt(2)
	v_mul_f16_sdwa v132, v131, v107 dst_sel:DWORD dst_unused:UNUSED_PAD src0_sel:DWORD src1_sel:WORD_1
	v_fma_f16 v137, v127, v107, -v132
	v_mul_f16_sdwa v127, v127, v107 dst_sel:DWORD dst_unused:UNUSED_PAD src0_sel:DWORD src1_sel:WORD_1
	v_fmac_f16_e32 v127, v131, v107
	ds_read2_b32 v[131:132], v120 offset0:96 offset1:151
	s_waitcnt lgkmcnt(0)
	v_lshrrev_b32_e32 v107, 16, v132
	s_waitcnt vmcnt(1)
	v_mul_f16_sdwa v200, v132, v122 dst_sel:DWORD dst_unused:UNUSED_PAD src0_sel:DWORD src1_sel:WORD_1
	v_fmac_f16_e32 v200, v107, v122
	v_mul_f16_sdwa v107, v107, v122 dst_sel:DWORD dst_unused:UNUSED_PAD src0_sel:DWORD src1_sel:WORD_1
	v_fma_f16 v107, v132, v122, -v107
	v_pack_b32_f16 v122, v137, v127
	v_add_nc_u32_e32 v127, 0x1c00, v139
	v_mul_f16_sdwa v137, v128, v134 dst_sel:DWORD dst_unused:UNUSED_PAD src0_sel:DWORD src1_sel:WORD_1
	v_pack_b32_f16 v107, v107, v200
	ds_write2_b32 v127, v107, v122 offset0:23 offset1:78
	v_lshrrev_b32_e32 v107, 16, v128
	v_mul_f16_sdwa v122, v107, v134 dst_sel:DWORD dst_unused:UNUSED_PAD src0_sel:DWORD src1_sel:WORD_1
	v_fmac_f16_e32 v137, v107, v134
	global_load_dword v107, v[110:111], off offset:220
	v_fma_f16 v132, v128, v134, -v122
	v_lshrrev_b32_e32 v122, 16, v123
	s_clause 0x5
	global_load_dword v134, v[110:111], off offset:440
	global_load_dword v200, v[110:111], off offset:660
	;; [unrolled: 1-line block ×6, first 2 shown]
	s_waitcnt vmcnt(6)
	v_mul_f16_sdwa v128, v122, v107 dst_sel:DWORD dst_unused:UNUSED_PAD src0_sel:DWORD src1_sel:WORD_1
	v_mul_f16_sdwa v205, v123, v107 dst_sel:DWORD dst_unused:UNUSED_PAD src0_sel:DWORD src1_sel:WORD_1
	v_fma_f16 v204, v123, v107, -v128
	v_fmac_f16_e32 v205, v122, v107
	ds_read2_b32 v[122:123], v198 offset0:38 offset1:93
	s_waitcnt lgkmcnt(0)
	v_lshrrev_b32_e32 v107, 16, v122
	v_mul_f16_sdwa v206, v122, v124 dst_sel:DWORD dst_unused:UNUSED_PAD src0_sel:DWORD src1_sel:WORD_1
	v_mul_f16_sdwa v208, v123, v133 dst_sel:DWORD dst_unused:UNUSED_PAD src0_sel:DWORD src1_sel:WORD_1
	v_fmac_f16_e32 v206, v107, v124
	v_mul_f16_sdwa v107, v107, v124 dst_sel:DWORD dst_unused:UNUSED_PAD src0_sel:DWORD src1_sel:WORD_1
	v_fma_f16 v124, v122, v124, -v107
	v_lshrrev_b32_e32 v107, 16, v123
	v_mul_f16_sdwa v122, v107, v133 dst_sel:DWORD dst_unused:UNUSED_PAD src0_sel:DWORD src1_sel:WORD_1
	v_fmac_f16_e32 v208, v107, v133
	global_load_dword v107, v[110:111], off offset:1100
	ds_read2_b32 v[110:111], v199 offset0:92 offset1:147
	v_fma_f16 v207, v123, v133, -v122
	s_waitcnt lgkmcnt(0)
	v_lshrrev_b32_e32 v122, 16, v111
	s_waitcnt vmcnt(0)
	v_mul_f16_sdwa v128, v111, v107 dst_sel:DWORD dst_unused:UNUSED_PAD src0_sel:DWORD src1_sel:WORD_1
	v_fmac_f16_e32 v128, v122, v107
	v_mul_f16_sdwa v122, v122, v107 dst_sel:DWORD dst_unused:UNUSED_PAD src0_sel:DWORD src1_sel:WORD_1
	v_fma_f16 v107, v111, v107, -v122
	ds_read2_b32 v[122:123], v119 offset0:74 offset1:129
	v_pack_b32_f16 v107, v107, v128
	s_waitcnt lgkmcnt(0)
	v_lshrrev_b32_e32 v111, 16, v122
	v_mul_f16_sdwa v133, v122, v127 dst_sel:DWORD dst_unused:UNUSED_PAD src0_sel:DWORD src1_sel:WORD_1
	v_fmac_f16_e32 v133, v111, v127
	v_mul_f16_sdwa v111, v111, v127 dst_sel:DWORD dst_unused:UNUSED_PAD src0_sel:DWORD src1_sel:WORD_1
	v_fma_f16 v111, v122, v127, -v111
	ds_read2_b32 v[127:128], v117 offset0:112 offset1:167
	v_pack_b32_f16 v111, v111, v133
	ds_write2_b32 v119, v107, v111 offset0:19 offset1:74
	s_clause 0x7
	global_load_dword v107, v[108:109], off offset:980
	global_load_dword v122, v[108:109], off offset:1200
	global_load_dword v133, v[108:109], off offset:1420
	global_load_dword v209, v[105:106], off offset:32
	global_load_dword v210, v[105:106], off offset:252
	global_load_dword v211, v[105:106], off offset:472
	global_load_dword v212, v[108:109], off offset:1640
	global_load_dword v109, v[108:109], off offset:1860
	s_waitcnt lgkmcnt(1)
	v_lshrrev_b32_e32 v111, 16, v127
	s_waitcnt vmcnt(7)
	v_mul_f16_sdwa v213, v127, v107 dst_sel:DWORD dst_unused:UNUSED_PAD src0_sel:DWORD src1_sel:WORD_1
	v_fmac_f16_e32 v213, v111, v107
	v_mul_f16_sdwa v111, v111, v107 dst_sel:DWORD dst_unused:UNUSED_PAD src0_sel:DWORD src1_sel:WORD_1
	v_fma_f16 v107, v127, v107, -v111
	v_pack_b32_f16 v111, v132, v137
	v_pack_b32_f16 v107, v107, v213
	ds_write2_b32 v117, v111, v107 offset0:57 offset1:112
	ds_read2_b32 v[107:108], v118 offset0:76 offset1:131
	s_waitcnt lgkmcnt(0)
	v_lshrrev_b32_e32 v111, 16, v107
	s_waitcnt vmcnt(0)
	v_mul_f16_sdwa v127, v107, v109 dst_sel:DWORD dst_unused:UNUSED_PAD src0_sel:DWORD src1_sel:WORD_1
	v_mul_f16_sdwa v132, v108, v209 dst_sel:DWORD dst_unused:UNUSED_PAD src0_sel:DWORD src1_sel:WORD_1
	v_fmac_f16_e32 v127, v111, v109
	v_mul_f16_sdwa v111, v111, v109 dst_sel:DWORD dst_unused:UNUSED_PAD src0_sel:DWORD src1_sel:WORD_1
	v_fma_f16 v111, v107, v109, -v111
	v_lshrrev_b32_e32 v107, 16, v108
	v_mul_f16_sdwa v109, v107, v209 dst_sel:DWORD dst_unused:UNUSED_PAD src0_sel:DWORD src1_sel:WORD_1
	v_fmac_f16_e32 v132, v107, v209
	v_fma_f16 v109, v108, v209, -v109
	s_clause 0x2
	global_load_dword v137, v[129:130], off offset:184
	global_load_dword v107, v[105:106], off offset:912
	;; [unrolled: 1-line block ×3, first 2 shown]
	ds_read2_b32 v[129:130], v125 offset0:40 offset1:95
	s_clause 0x3
	global_load_dword v213, v[105:106], off offset:1352
	global_load_dword v214, v[105:106], off offset:1572
	;; [unrolled: 1-line block ×4, first 2 shown]
	s_waitcnt lgkmcnt(0)
	v_lshrrev_b32_e32 v108, 16, v130
	s_waitcnt vmcnt(5)
	v_mul_f16_sdwa v217, v130, v107 dst_sel:DWORD dst_unused:UNUSED_PAD src0_sel:DWORD src1_sel:WORD_1
	v_fmac_f16_e32 v217, v108, v107
	v_mul_f16_sdwa v108, v108, v107 dst_sel:DWORD dst_unused:UNUSED_PAD src0_sel:DWORD src1_sel:WORD_1
	v_fma_f16 v130, v130, v107, -v108
	ds_read2_b32 v[107:108], v125 offset0:150 offset1:205
	v_pack_b32_f16 v130, v130, v217
	s_waitcnt lgkmcnt(0)
	v_lshrrev_b32_e32 v218, 16, v107
	s_waitcnt vmcnt(4)
	v_mul_f16_sdwa v219, v107, v209 dst_sel:DWORD dst_unused:UNUSED_PAD src0_sel:DWORD src1_sel:WORD_1
	v_fmac_f16_e32 v219, v218, v209
	v_mul_f16_sdwa v218, v218, v209 dst_sel:DWORD dst_unused:UNUSED_PAD src0_sel:DWORD src1_sel:WORD_1
	v_fma_f16 v107, v107, v209, -v218
	v_pack_b32_f16 v107, v107, v219
	ds_write2_b32 v125, v130, v107 offset0:95 offset1:150
	global_load_dword v107, v[105:106], off offset:2012
	ds_read2_b32 v[105:106], v197 offset0:114 offset1:169
	s_waitcnt lgkmcnt(0)
	v_lshrrev_b32_e32 v130, 16, v105
	v_mul_f16_sdwa v218, v106, v137 dst_sel:DWORD dst_unused:UNUSED_PAD src0_sel:DWORD src1_sel:WORD_1
	s_waitcnt vmcnt(0)
	v_mul_f16_sdwa v209, v105, v107 dst_sel:DWORD dst_unused:UNUSED_PAD src0_sel:DWORD src1_sel:WORD_1
	v_fmac_f16_e32 v209, v130, v107
	v_mul_f16_sdwa v130, v130, v107 dst_sel:DWORD dst_unused:UNUSED_PAD src0_sel:DWORD src1_sel:WORD_1
	v_fma_f16 v130, v105, v107, -v130
	v_lshrrev_b32_e32 v105, 16, v106
	v_mul_f16_sdwa v107, v105, v137 dst_sel:DWORD dst_unused:UNUSED_PAD src0_sel:DWORD src1_sel:WORD_1
	v_fmac_f16_e32 v218, v105, v137
	v_lshrrev_b32_e32 v105, 16, v126
	v_fma_f16 v217, v106, v137, -v107
	v_mul_f16_sdwa v106, v105, v135 dst_sel:DWORD dst_unused:UNUSED_PAD src0_sel:DWORD src1_sel:WORD_1
	v_fma_f16 v107, v126, v135, -v106
	v_mul_f16_sdwa v126, v126, v135 dst_sel:DWORD dst_unused:UNUSED_PAD src0_sel:DWORD src1_sel:WORD_1
	v_fmac_f16_e32 v126, v105, v135
	ds_read2_b32 v[105:106], v139 offset0:110 offset1:165
	v_pack_b32_f16 v107, v107, v126
	s_waitcnt lgkmcnt(0)
	v_lshrrev_b32_e32 v135, 16, v105
	v_mul_f16_sdwa v137, v105, v134 dst_sel:DWORD dst_unused:UNUSED_PAD src0_sel:DWORD src1_sel:WORD_1
	v_fmac_f16_e32 v137, v135, v134
	v_mul_f16_sdwa v135, v135, v134 dst_sel:DWORD dst_unused:UNUSED_PAD src0_sel:DWORD src1_sel:WORD_1
	v_fma_f16 v105, v105, v134, -v135
	v_pack_b32_f16 v134, v204, v205
	v_pack_b32_f16 v105, v105, v137
	v_mul_f16_sdwa v137, v108, v213 dst_sel:DWORD dst_unused:UNUSED_PAD src0_sel:DWORD src1_sel:WORD_1
	ds_write2_b32 v139, v134, v105 offset0:55 offset1:110
	v_lshrrev_b32_e32 v105, 16, v123
	v_mul_f16_sdwa v134, v105, v201 dst_sel:DWORD dst_unused:UNUSED_PAD src0_sel:DWORD src1_sel:WORD_1
	v_fma_f16 v134, v123, v201, -v134
	v_mul_f16_sdwa v123, v123, v201 dst_sel:DWORD dst_unused:UNUSED_PAD src0_sel:DWORD src1_sel:WORD_1
	v_fmac_f16_e32 v123, v105, v201
	v_pack_b32_f16 v105, v207, v208
	ds_write2_b32 v198, v105, v107 offset0:93 offset1:148
	v_lshrrev_b32_e32 v105, 16, v128
	v_mul_f16_sdwa v107, v105, v122 dst_sel:DWORD dst_unused:UNUSED_PAD src0_sel:DWORD src1_sel:WORD_1
	v_fma_f16 v126, v128, v122, -v107
	v_mul_f16_sdwa v128, v128, v122 dst_sel:DWORD dst_unused:UNUSED_PAD src0_sel:DWORD src1_sel:WORD_1
	v_fmac_f16_e32 v128, v105, v122
	v_lshrrev_b32_e32 v105, 16, v131
	v_mul_f16_sdwa v107, v105, v138 dst_sel:DWORD dst_unused:UNUSED_PAD src0_sel:DWORD src1_sel:WORD_1
	v_fma_f16 v122, v131, v138, -v107
	v_mul_f16_sdwa v131, v131, v138 dst_sel:DWORD dst_unused:UNUSED_PAD src0_sel:DWORD src1_sel:WORD_1
	v_fmac_f16_e32 v131, v105, v138
	v_lshrrev_b32_e32 v105, 16, v108
	v_mul_f16_sdwa v107, v105, v213 dst_sel:DWORD dst_unused:UNUSED_PAD src0_sel:DWORD src1_sel:WORD_1
	v_fmac_f16_e32 v137, v105, v213
	v_fma_f16 v135, v108, v213, -v107
	ds_read2_b32 v[107:108], v118 offset0:186 offset1:241
	s_waitcnt lgkmcnt(0)
	v_lshrrev_b32_e32 v105, 16, v107
	v_mul_f16_sdwa v138, v107, v210 dst_sel:DWORD dst_unused:UNUSED_PAD src0_sel:DWORD src1_sel:WORD_1
	v_fmac_f16_e32 v138, v105, v210
	v_mul_f16_sdwa v105, v105, v210 dst_sel:DWORD dst_unused:UNUSED_PAD src0_sel:DWORD src1_sel:WORD_1
	v_fma_f16 v105, v107, v210, -v105
	v_pack_b32_f16 v107, v109, v132
	v_mul_f16_sdwa v132, v106, v200 dst_sel:DWORD dst_unused:UNUSED_PAD src0_sel:DWORD src1_sel:WORD_1
	v_pack_b32_f16 v105, v105, v138
	ds_write2_b32 v118, v107, v105 offset0:131 offset1:186
	v_pack_b32_f16 v105, v217, v218
	v_pack_b32_f16 v107, v122, v131
	ds_write2_b32 v197, v105, v107 offset0:169 offset1:224
	v_lshrrev_b32_e32 v105, 16, v106
	v_mul_f16_sdwa v107, v105, v200 dst_sel:DWORD dst_unused:UNUSED_PAD src0_sel:DWORD src1_sel:WORD_1
	v_fmac_f16_e32 v132, v105, v200
	v_fma_f16 v131, v106, v200, -v107
	ds_read2_b32 v[105:106], v119 offset0:184 offset1:239
	s_waitcnt lgkmcnt(0)
	v_lshrrev_b32_e32 v107, 16, v105
	v_mul_f16_sdwa v109, v105, v202 dst_sel:DWORD dst_unused:UNUSED_PAD src0_sel:DWORD src1_sel:WORD_1
	v_fmac_f16_e32 v109, v107, v202
	v_mul_f16_sdwa v107, v107, v202 dst_sel:DWORD dst_unused:UNUSED_PAD src0_sel:DWORD src1_sel:WORD_1
	v_fma_f16 v105, v105, v202, -v107
	v_pack_b32_f16 v107, v134, v123
	ds_read2_b32 v[122:123], v121 offset0:94 offset1:149
	v_add_nc_u32_e32 v202, 0x1200, v139
	v_pack_b32_f16 v105, v105, v109
	v_pack_b32_f16 v109, v126, v128
	v_mul_f16_sdwa v126, v108, v211 dst_sel:DWORD dst_unused:UNUSED_PAD src0_sel:DWORD src1_sel:WORD_1
	ds_write2_b32 v119, v107, v105 offset0:129 offset1:184
	s_waitcnt lgkmcnt(1)
	v_lshrrev_b32_e32 v105, 16, v122
	v_mul_f16_sdwa v107, v122, v133 dst_sel:DWORD dst_unused:UNUSED_PAD src0_sel:DWORD src1_sel:WORD_1
	v_fmac_f16_e32 v107, v105, v133
	v_mul_f16_sdwa v105, v105, v133 dst_sel:DWORD dst_unused:UNUSED_PAD src0_sel:DWORD src1_sel:WORD_1
	v_fma_f16 v105, v122, v133, -v105
	v_pack_b32_f16 v105, v105, v107
	ds_write2_b32 v117, v109, v105 offset0:167 offset1:222
	v_lshrrev_b32_e32 v105, 16, v108
	v_mul_f16_sdwa v107, v105, v211 dst_sel:DWORD dst_unused:UNUSED_PAD src0_sel:DWORD src1_sel:WORD_1
	v_fmac_f16_e32 v126, v105, v211
	v_fma_f16 v122, v108, v211, -v107
	ds_read2_b32 v[108:109], v197 offset0:4 offset1:59
	s_waitcnt lgkmcnt(0)
	v_lshrrev_b32_e32 v105, 16, v108
	v_mul_f16_sdwa v107, v108, v214 dst_sel:DWORD dst_unused:UNUSED_PAD src0_sel:DWORD src1_sel:WORD_1
	v_fmac_f16_e32 v107, v105, v214
	v_mul_f16_sdwa v105, v105, v214 dst_sel:DWORD dst_unused:UNUSED_PAD src0_sel:DWORD src1_sel:WORD_1
	v_fma_f16 v105, v108, v214, -v105
	v_pack_b32_f16 v108, v135, v137
	v_pack_b32_f16 v105, v105, v107
	v_add_nc_u32_e32 v107, 0x1600, v139
	ds_write2_b32 v107, v108, v105 offset0:77 offset1:132
	v_lshrrev_b32_e32 v105, 16, v110
	v_mul_f16_sdwa v108, v105, v203 dst_sel:DWORD dst_unused:UNUSED_PAD src0_sel:DWORD src1_sel:WORD_1
	v_fma_f16 v108, v110, v203, -v108
	v_mul_f16_sdwa v110, v110, v203 dst_sel:DWORD dst_unused:UNUSED_PAD src0_sel:DWORD src1_sel:WORD_1
	v_fmac_f16_e32 v110, v105, v203
	v_lshrrev_b32_e32 v105, 16, v106
	v_pack_b32_f16 v108, v108, v110
	v_mul_f16_sdwa v128, v105, v136 dst_sel:DWORD dst_unused:UNUSED_PAD src0_sel:DWORD src1_sel:WORD_1
	v_mul_f16_sdwa v110, v123, v212 dst_sel:DWORD dst_unused:UNUSED_PAD src0_sel:DWORD src1_sel:WORD_1
	v_fma_f16 v128, v106, v136, -v128
	v_mul_f16_sdwa v106, v106, v136 dst_sel:DWORD dst_unused:UNUSED_PAD src0_sel:DWORD src1_sel:WORD_1
	v_fmac_f16_e32 v106, v105, v136
	v_pack_b32_f16 v105, v131, v132
	v_pack_b32_f16 v106, v128, v106
	ds_write2_b32 v139, v105, v108 offset0:165 offset1:220
	v_pack_b32_f16 v105, v124, v206
	v_add_nc_u32_e32 v108, 0x600, v139
	v_mul_f16_sdwa v124, v129, v216 dst_sel:DWORD dst_unused:UNUSED_PAD src0_sel:DWORD src1_sel:WORD_1
	ds_write2_b32 v108, v106, v105 offset0:111 offset1:166
	v_lshrrev_b32_e32 v105, 16, v123
	v_mul_f16_sdwa v106, v105, v212 dst_sel:DWORD dst_unused:UNUSED_PAD src0_sel:DWORD src1_sel:WORD_1
	v_fmac_f16_e32 v110, v105, v212
	v_lshrrev_b32_e32 v105, 16, v129
	v_fma_f16 v106, v123, v212, -v106
	v_mul_f16_sdwa v123, v105, v216 dst_sel:DWORD dst_unused:UNUSED_PAD src0_sel:DWORD src1_sel:WORD_1
	v_fmac_f16_e32 v124, v105, v216
	v_lshrrev_b32_e32 v105, 16, v109
	v_pack_b32_f16 v106, v106, v110
	v_fma_f16 v123, v129, v216, -v123
	v_mul_f16_sdwa v128, v105, v215 dst_sel:DWORD dst_unused:UNUSED_PAD src0_sel:DWORD src1_sel:WORD_1
	v_fma_f16 v128, v109, v215, -v128
	v_mul_f16_sdwa v109, v109, v215 dst_sel:DWORD dst_unused:UNUSED_PAD src0_sel:DWORD src1_sel:WORD_1
	v_fmac_f16_e32 v109, v105, v215
	v_pack_b32_f16 v105, v111, v127
	ds_write2_b32 v118, v106, v105 offset0:21 offset1:76
	v_pack_b32_f16 v105, v122, v126
	v_pack_b32_f16 v106, v123, v124
	ds_write2_b32 v202, v105, v106 offset0:113 offset1:168
	v_pack_b32_f16 v105, v130, v209
	v_pack_b32_f16 v106, v128, v109
	ds_write2_b32 v197, v106, v105 offset0:59 offset1:114
	s_waitcnt lgkmcnt(0)
	s_barrier
	buffer_gl0_inv
	ds_read2_b32 v[105:106], v198 offset0:38 offset1:93
	ds_read2_b32 v[109:110], v125 offset0:150 offset1:205
	;; [unrolled: 1-line block ×3, first 2 shown]
	s_waitcnt lgkmcnt(1)
	v_pk_add_f16 v130, v106, v109
	v_pk_add_f16 v131, v106, v109 neg_lo:[0,1] neg_hi:[0,1]
	s_waitcnt lgkmcnt(0)
	v_pk_add_f16 v132, v122, v110
	v_pk_add_f16 v133, v122, v110 neg_lo:[0,1] neg_hi:[0,1]
	ds_read2_b32 v[109:110], v197 offset0:4 offset1:59
	s_waitcnt lgkmcnt(0)
	v_pk_add_f16 v134, v123, v109
	v_pk_add_f16 v135, v123, v109 neg_lo:[0,1] neg_hi:[0,1]
	ds_read2_b32 v[122:123], v117 offset0:2 offset1:57
	;; [unrolled: 4-line block ×5, first 2 shown]
	ds_read2_b32 v[121:122], v121 offset0:94 offset1:149
	s_waitcnt lgkmcnt(1)
	v_pk_add_f16 v201, v123, v109
	v_pk_add_f16 v203, v109, v123 neg_lo:[0,1] neg_hi:[0,1]
	s_waitcnt lgkmcnt(0)
	v_pk_add_f16 v204, v121, v110
	v_pk_add_f16 v205, v110, v121 neg_lo:[0,1] neg_hi:[0,1]
	ds_read2_b32 v[109:110], v125 offset0:40 offset1:95
	s_waitcnt lgkmcnt(0)
	v_pk_add_f16 v121, v105, v110
	v_pk_add_f16 v123, v105, v110 neg_lo:[0,1] neg_hi:[0,1]
	v_pk_add_f16 v206, v122, v109
	v_pk_add_f16 v207, v109, v122 neg_lo:[0,1] neg_hi:[0,1]
	ds_read2_b32 v[105:106], v197 offset0:114 offset1:169
	ds_read2_b32 v[109:110], v199 offset0:92 offset1:147
	v_pk_add_f16 v208, v111, v121 neg_lo:[0,1] neg_hi:[0,1]
	v_pk_add_f16 v210, v124, v123 neg_lo:[0,1] neg_hi:[0,1]
	s_waitcnt lgkmcnt(0)
	v_pk_add_f16 v122, v110, v105
	v_pk_add_f16 v105, v110, v105 neg_lo:[0,1] neg_hi:[0,1]
	v_pk_add_f16 v110, v124, v123
	v_pk_add_f16 v126, v121, v122
	v_pk_add_f16 v127, v122, v111 neg_lo:[0,1] neg_hi:[0,1]
	v_pk_add_f16 v122, v121, v122 neg_lo:[0,1] neg_hi:[0,1]
	v_pk_add_f16 v209, v110, v105
	v_pk_add_f16 v110, v123, v105 neg_lo:[0,1] neg_hi:[0,1]
	v_pk_add_f16 v126, v111, v126
	v_pk_add_f16 v105, v105, v124 neg_lo:[0,1] neg_hi:[0,1]
	v_pk_mul_f16 v121, 0x39e0, v122 op_sel_hi:[0,1]
	v_pk_mul_f16 v211, 0x3a52, v127 op_sel_hi:[0,1]
	;; [unrolled: 1-line block ×3, first 2 shown]
	ds_read2_b32 v[110:111], v139 offset1:55
	v_pk_add_f16 v123, v211, v121 op_sel:[1,1] op_sel_hi:[0,0] neg_lo:[1,1] neg_hi:[1,1]
	v_pk_fma_f16 v124, 0xb574, v105, v122 op_sel_hi:[0,1,1] neg_lo:[0,1,1] neg_hi:[0,1,1]
	v_pk_fma_f16 v121, 0x2b26, v208, v121 op_sel_hi:[0,1,1] neg_lo:[0,1,0] neg_hi:[0,1,0]
	;; [unrolled: 1-line block ×3, first 2 shown]
	v_pk_mul_f16 v105, 0xb574, v105 op_sel_hi:[0,1]
	v_pk_fma_f16 v208, 0x2b26, v208, v211 op_sel_hi:[0,1,1]
	v_pk_fma_f16 v124, 0xb70e, v209, v124 op_sel_hi:[0,1,1]
	;; [unrolled: 1-line block ×5, first 2 shown]
	s_waitcnt lgkmcnt(0)
	v_pk_add_f16 v110, v110, v126
	v_pk_fma_f16 v212, 0x3cab, v126, v110 op_sel_hi:[0,1,1] neg_lo:[0,1,0] neg_hi:[0,1,0]
	v_pk_add_f16 v123, v123, v212 op_sel:[0,1] op_sel_hi:[1,0]
	v_pk_add_f16 v121, v121, v212
	v_pk_add_f16 v208, v208, v212
	;; [unrolled: 1-line block ×3, first 2 shown]
	v_pk_add_f16 v214, v123, v124 neg_lo:[0,1] neg_hi:[0,1]
	v_pk_add_f16 v215, v121, v122 op_sel:[0,1] op_sel_hi:[1,0] neg_lo:[0,1] neg_hi:[0,1]
	v_pk_add_f16 v216, v121, v122 op_sel:[0,1] op_sel_hi:[1,0]
	ds_read_b32 v217, v139 offset:7480
	ds_read2_b32 v[121:122], v119 offset0:74 offset1:129
	ds_read2_b32 v[123:124], v120 offset0:96 offset1:151
	;; [unrolled: 1-line block ×4, first 2 shown]
	v_pk_add_f16 v209, v208, v105 op_sel:[0,1] op_sel_hi:[1,0]
	v_pk_add_f16 v105, v208, v105 op_sel:[0,1] op_sel_hi:[1,0] neg_lo:[0,1] neg_hi:[0,1]
	s_waitcnt lgkmcnt(0)
	s_barrier
	buffer_gl0_inv
	v_alignbit_b32 v218, v214, v213, 16
	v_bfi_b32 v208, 0xffff, v209, v105
	v_bfi_b32 v105, 0xffff, v105, v209
	;; [unrolled: 1-line block ×4, first 2 shown]
	v_alignbit_b32 v213, v213, v214, 16
	ds_write2_b32 v115, v110, v208 offset1:1
	ds_write_b32 v115, v105 offset:24
	ds_write2_b32 v115, v218, v219 offset0:2 offset1:3
	ds_write2_b32 v115, v215, v213 offset0:4 offset1:5
	v_pk_add_f16 v105, v121, v106
	v_pk_add_f16 v106, v121, v106 neg_lo:[0,1] neg_hi:[0,1]
	v_pk_add_f16 v121, v138, v130 neg_lo:[0,1] neg_hi:[0,1]
	v_pk_add_f16 v110, v130, v105
	v_pk_add_f16 v115, v105, v138 neg_lo:[0,1] neg_hi:[0,1]
	v_pk_add_f16 v105, v130, v105 neg_lo:[0,1] neg_hi:[0,1]
	v_pk_add_f16 v130, v200, v131
	v_pk_add_f16 v110, v138, v110
	v_pk_add_f16 v138, v131, v106 neg_lo:[0,1] neg_hi:[0,1]
	v_pk_add_f16 v131, v200, v131 neg_lo:[0,1] neg_hi:[0,1]
	v_pk_add_f16 v130, v130, v106
	v_pk_add_f16 v106, v106, v200 neg_lo:[0,1] neg_hi:[0,1]
	v_pk_add_f16 v111, v111, v110
	v_pk_mul_f16 v115, 0x3a52, v115 op_sel_hi:[0,1]
	v_pk_mul_f16 v105, 0x39e0, v105 op_sel_hi:[0,1]
	v_pk_mul_f16 v138, 0xbb00, v138 op_sel_hi:[0,1]
	v_pk_fma_f16 v110, 0x3cab, v110, v111 op_sel_hi:[0,1,1] neg_lo:[0,1,0] neg_hi:[0,1,0]
	v_pk_add_f16 v200, v115, v105 op_sel:[1,1] op_sel_hi:[0,0] neg_lo:[1,1] neg_hi:[1,1]
	v_pk_fma_f16 v208, 0xb574, v106, v138 op_sel_hi:[0,1,1] neg_lo:[0,1,1] neg_hi:[0,1,1]
	v_pk_fma_f16 v105, 0x2b26, v121, v105 op_sel_hi:[0,1,1] neg_lo:[0,1,0] neg_hi:[0,1,0]
	;; [unrolled: 1-line block ×3, first 2 shown]
	v_pk_mul_f16 v106, 0xb574, v106 op_sel_hi:[0,1]
	v_pk_add_f16 v200, v200, v110 op_sel:[0,1] op_sel_hi:[1,0]
	v_pk_fma_f16 v208, 0xb70e, v130, v208 op_sel_hi:[0,1,1]
	v_pk_add_f16 v105, v105, v110
	v_pk_fma_f16 v138, 0xb70e, v130, v138 op_sel_hi:[0,1,1]
	v_pk_fma_f16 v106, 0x3846, v131, v106 op_sel_hi:[0,1,1]
	v_pk_add_f16 v209, v200, v208
	v_pk_add_f16 v200, v200, v208 neg_lo:[0,1] neg_hi:[0,1]
	v_pk_add_f16 v208, v105, v138 op_sel:[0,1] op_sel_hi:[1,0] neg_lo:[0,1] neg_hi:[0,1]
	v_pk_add_f16 v105, v105, v138 op_sel:[0,1] op_sel_hi:[1,0]
	v_pk_fma_f16 v106, 0xb70e, v130, v106 op_sel_hi:[0,1,1]
	v_alignbit_b32 v138, v200, v209, 16
	v_bfi_b32 v210, 0xffff, v208, v105
	v_bfi_b32 v105, 0xffff, v105, v208
	ds_write2_b32 v113, v138, v210 offset0:2 offset1:3
	v_alignbit_b32 v138, v209, v200, 16
	ds_write2_b32 v113, v105, v138 offset0:4 offset1:5
	v_pk_fma_f16 v105, 0x2b26, v121, v115 op_sel_hi:[0,1,1]
	v_pk_add_f16 v115, v203, v133
	v_pk_add_f16 v105, v105, v110
	v_pk_add_f16 v110, v105, v106 op_sel:[0,1] op_sel_hi:[1,0]
	v_pk_add_f16 v105, v105, v106 op_sel:[0,1] op_sel_hi:[1,0] neg_lo:[0,1] neg_hi:[0,1]
	v_bfi_b32 v106, 0xffff, v110, v105
	v_bfi_b32 v105, 0xffff, v105, v110
	ds_write2_b32 v113, v111, v106 offset1:1
	ds_write_b32 v113, v105 offset:24
	v_pk_add_f16 v105, v122, v123
	v_pk_add_f16 v106, v122, v123 neg_lo:[0,1] neg_hi:[0,1]
	v_pk_add_f16 v113, v201, v132 neg_lo:[0,1] neg_hi:[0,1]
	;; [unrolled: 1-line block ×3, first 2 shown]
	v_pk_add_f16 v110, v132, v105
	v_pk_add_f16 v111, v105, v201 neg_lo:[0,1] neg_hi:[0,1]
	v_pk_add_f16 v105, v132, v105 neg_lo:[0,1] neg_hi:[0,1]
	;; [unrolled: 1-line block ×3, first 2 shown]
	v_pk_add_f16 v115, v115, v106
	v_pk_add_f16 v110, v201, v110
	v_pk_add_f16 v106, v106, v203 neg_lo:[0,1] neg_hi:[0,1]
	v_pk_mul_f16 v111, 0x3a52, v111 op_sel_hi:[0,1]
	v_pk_mul_f16 v105, 0x39e0, v105 op_sel_hi:[0,1]
	;; [unrolled: 1-line block ×3, first 2 shown]
	v_pk_add_f16 v123, v126, v110
	v_pk_add_f16 v126, v111, v105 op_sel:[1,1] op_sel_hi:[0,0] neg_lo:[1,1] neg_hi:[1,1]
	v_pk_fma_f16 v130, 0xb574, v106, v121 op_sel_hi:[0,1,1] neg_lo:[0,1,1] neg_hi:[0,1,1]
	v_pk_fma_f16 v110, 0x3cab, v110, v123 op_sel_hi:[0,1,1] neg_lo:[0,1,0] neg_hi:[0,1,0]
	;; [unrolled: 1-line block ×4, first 2 shown]
	v_pk_mul_f16 v106, 0xb574, v106 op_sel_hi:[0,1]
	v_pk_fma_f16 v130, 0xb70e, v115, v130 op_sel_hi:[0,1,1]
	v_pk_add_f16 v126, v126, v110 op_sel:[0,1] op_sel_hi:[1,0]
	v_pk_add_f16 v105, v105, v110
	v_pk_fma_f16 v121, 0xb70e, v115, v121 op_sel_hi:[0,1,1]
	v_pk_fma_f16 v106, 0x3846, v122, v106 op_sel_hi:[0,1,1]
	v_pk_add_f16 v122, v205, v135 neg_lo:[0,1] neg_hi:[0,1]
	v_pk_add_f16 v131, v126, v130
	v_pk_add_f16 v126, v126, v130 neg_lo:[0,1] neg_hi:[0,1]
	v_pk_add_f16 v130, v105, v121 op_sel:[0,1] op_sel_hi:[1,0] neg_lo:[0,1] neg_hi:[0,1]
	v_pk_add_f16 v105, v105, v121 op_sel:[0,1] op_sel_hi:[1,0]
	v_pk_fma_f16 v106, 0xb70e, v115, v106 op_sel_hi:[0,1,1]
	v_pk_add_f16 v115, v205, v135
	v_alignbit_b32 v121, v126, v131, 16
	v_bfi_b32 v132, 0xffff, v130, v105
	v_bfi_b32 v105, 0xffff, v105, v130
	ds_write2_b32 v112, v121, v132 offset0:2 offset1:3
	v_alignbit_b32 v121, v131, v126, 16
	ds_write2_b32 v112, v105, v121 offset0:4 offset1:5
	v_pk_fma_f16 v105, 0x2b26, v113, v111 op_sel_hi:[0,1,1]
	v_pk_add_f16 v113, v204, v134 neg_lo:[0,1] neg_hi:[0,1]
	v_pk_add_f16 v105, v105, v110
	v_pk_add_f16 v110, v105, v106 op_sel:[0,1] op_sel_hi:[1,0]
	v_pk_add_f16 v105, v105, v106 op_sel:[0,1] op_sel_hi:[1,0] neg_lo:[0,1] neg_hi:[0,1]
	v_bfi_b32 v106, 0xffff, v110, v105
	v_bfi_b32 v105, 0xffff, v105, v110
	ds_write2_b32 v112, v123, v106 offset1:1
	ds_write_b32 v112, v105 offset:24
	v_pk_add_f16 v105, v128, v124
	v_pk_add_f16 v106, v128, v124 neg_lo:[0,1] neg_hi:[0,1]
	v_pk_add_f16 v110, v134, v105
	v_pk_add_f16 v112, v105, v204 neg_lo:[0,1] neg_hi:[0,1]
	v_pk_add_f16 v105, v134, v105 neg_lo:[0,1] neg_hi:[0,1]
	;; [unrolled: 1-line block ×3, first 2 shown]
	v_pk_add_f16 v115, v115, v106
	v_pk_add_f16 v110, v204, v110
	v_pk_add_f16 v106, v106, v205 neg_lo:[0,1] neg_hi:[0,1]
	v_pk_mul_f16 v112, 0x3a52, v112 op_sel_hi:[0,1]
	v_pk_mul_f16 v105, 0x39e0, v105 op_sel_hi:[0,1]
	;; [unrolled: 1-line block ×3, first 2 shown]
	v_pk_add_f16 v111, v127, v110
	v_pk_add_f16 v123, v112, v105 op_sel:[1,1] op_sel_hi:[0,0] neg_lo:[1,1] neg_hi:[1,1]
	v_pk_fma_f16 v124, 0xb574, v106, v121 op_sel_hi:[0,1,1] neg_lo:[0,1,1] neg_hi:[0,1,1]
	v_pk_fma_f16 v110, 0x3cab, v110, v111 op_sel_hi:[0,1,1] neg_lo:[0,1,0] neg_hi:[0,1,0]
	;; [unrolled: 1-line block ×4, first 2 shown]
	v_pk_mul_f16 v106, 0xb574, v106 op_sel_hi:[0,1]
	v_pk_fma_f16 v124, 0xb70e, v115, v124 op_sel_hi:[0,1,1]
	v_pk_add_f16 v123, v123, v110 op_sel:[0,1] op_sel_hi:[1,0]
	v_pk_add_f16 v105, v105, v110
	v_pk_fma_f16 v121, 0xb70e, v115, v121 op_sel_hi:[0,1,1]
	v_pk_fma_f16 v112, 0x2b26, v113, v112 op_sel_hi:[0,1,1]
	;; [unrolled: 1-line block ×3, first 2 shown]
	v_pk_add_f16 v126, v123, v124
	v_pk_add_f16 v123, v123, v124 neg_lo:[0,1] neg_hi:[0,1]
	v_pk_add_f16 v124, v105, v121 op_sel:[0,1] op_sel_hi:[1,0] neg_lo:[0,1] neg_hi:[0,1]
	v_pk_add_f16 v105, v105, v121 op_sel:[0,1] op_sel_hi:[1,0]
	v_pk_add_f16 v110, v112, v110
	v_pk_fma_f16 v106, 0xb70e, v115, v106 op_sel_hi:[0,1,1]
	v_alignbit_b32 v121, v123, v126, 16
	v_pk_add_f16 v115, v207, v137 neg_lo:[0,1] neg_hi:[0,1]
	v_bfi_b32 v127, 0xffff, v124, v105
	v_bfi_b32 v105, 0xffff, v105, v124
	v_pk_add_f16 v112, v110, v106 op_sel:[0,1] op_sel_hi:[1,0]
	v_pk_add_f16 v106, v110, v106 op_sel:[0,1] op_sel_hi:[1,0] neg_lo:[0,1] neg_hi:[0,1]
	ds_write2_b32 v114, v121, v127 offset0:2 offset1:3
	v_alignbit_b32 v121, v126, v123, 16
	v_bfi_b32 v110, 0xffff, v112, v106
	v_bfi_b32 v106, 0xffff, v106, v112
	v_pk_add_f16 v112, v207, v137
	ds_write2_b32 v114, v105, v121 offset0:4 offset1:5
	v_pk_add_f16 v105, v129, v217
	v_pk_add_f16 v121, v129, v217 neg_lo:[0,1] neg_hi:[0,1]
	ds_write_b32 v114, v106 offset:24
	ds_write2_b32 v114, v111, v110 offset1:1
	v_pk_add_f16 v111, v206, v136 neg_lo:[0,1] neg_hi:[0,1]
	v_pk_add_f16 v106, v136, v105
	v_pk_add_f16 v110, v105, v206 neg_lo:[0,1] neg_hi:[0,1]
	v_pk_add_f16 v105, v136, v105 neg_lo:[0,1] neg_hi:[0,1]
	;; [unrolled: 1-line block ×4, first 2 shown]
	v_pk_add_f16 v106, v206, v106
	v_pk_mul_f16 v110, 0x3a52, v110 op_sel_hi:[0,1]
	v_pk_mul_f16 v105, 0x39e0, v105 op_sel_hi:[0,1]
	;; [unrolled: 1-line block ×3, first 2 shown]
	v_pk_add_f16 v112, v112, v121
	v_pk_add_f16 v109, v109, v106
	v_pk_add_f16 v121, v110, v105 op_sel:[1,1] op_sel_hi:[0,0] neg_lo:[1,1] neg_hi:[1,1]
	v_pk_fma_f16 v122, 0xb574, v114, v113 op_sel_hi:[0,1,1] neg_lo:[0,1,1] neg_hi:[0,1,1]
	v_pk_fma_f16 v105, 0x2b26, v111, v105 op_sel_hi:[0,1,1] neg_lo:[0,1,0] neg_hi:[0,1,0]
	;; [unrolled: 1-line block ×4, first 2 shown]
	v_pk_fma_f16 v122, 0xb70e, v112, v122 op_sel_hi:[0,1,1]
	v_pk_add_f16 v121, v121, v106 op_sel:[0,1] op_sel_hi:[1,0]
	v_pk_add_f16 v105, v105, v106
	v_pk_fma_f16 v113, 0xb70e, v112, v113 op_sel_hi:[0,1,1]
	v_pk_add_f16 v200, v121, v122
	v_pk_add_f16 v121, v121, v122 neg_lo:[0,1] neg_hi:[0,1]
	v_pk_add_f16 v122, v105, v113 op_sel:[0,1] op_sel_hi:[1,0] neg_lo:[0,1] neg_hi:[0,1]
	v_pk_add_f16 v105, v105, v113 op_sel:[0,1] op_sel_hi:[1,0]
	v_alignbit_b32 v113, v121, v200, 16
	v_bfi_b32 v123, 0xffff, v122, v105
	v_bfi_b32 v105, 0xffff, v105, v122
	ds_write2_b32 v116, v113, v123 offset0:2 offset1:3
	v_alignbit_b32 v113, v200, v121, 16
	ds_write2_b32 v116, v105, v113 offset0:4 offset1:5
	v_pk_fma_f16 v105, 0x2b26, v111, v110 op_sel_hi:[0,1,1]
	v_pk_mul_f16 v110, 0xb574, v114 op_sel_hi:[0,1]
	v_pk_add_f16 v105, v105, v106
	v_pk_fma_f16 v110, 0x3846, v115, v110 op_sel_hi:[0,1,1]
	v_pk_fma_f16 v106, 0xb70e, v112, v110 op_sel_hi:[0,1,1]
	v_pk_add_f16 v110, v105, v106 op_sel:[0,1] op_sel_hi:[1,0]
	v_pk_add_f16 v106, v105, v106 op_sel:[0,1] op_sel_hi:[1,0] neg_lo:[0,1] neg_hi:[0,1]
	v_lshrrev_b32_e32 v201, 16, v110
	v_bfi_b32 v105, 0xffff, v110, v106
	ds_write2_b32 v116, v109, v105 offset1:1
	v_bfi_b32 v105, 0xffff, v106, v110
	ds_write_b32 v116, v105 offset:24
	v_lshrrev_b32_e32 v105, 16, v121
	s_waitcnt lgkmcnt(0)
	s_barrier
	buffer_gl0_inv
	ds_read2_b32 v[137:138], v119 offset0:94 offset1:149
	ds_read2_b32 v[123:124], v108 offset0:76 offset1:141
	;; [unrolled: 1-line block ×9, first 2 shown]
	ds_read2_b32 v[117:118], v125 offset1:55
	ds_read_b32 v206, v139 offset:7440
	ds_read2_b32 v[109:110], v139 offset1:55
	ds_read2_b32 v[107:108], v139 offset0:110 offset1:175
	ds_read2_b32 v[135:136], v198 offset0:188 offset1:243
	;; [unrolled: 1-line block ×5, first 2 shown]
	s_and_saveexec_b32 s0, vcc_lo
	s_cbranch_execz .LBB0_7
; %bb.6:
	v_add_nc_u32_e32 v103, 0xd00, v139
	ds_read2_b32 v[105:106], v199 offset0:37 offset1:212
	ds_read2_b32 v[97:98], v198 offset0:3 offset1:178
	ds_read2_b32 v[101:102], v202 offset0:63 offset1:238
	ds_read2_b32 v[99:100], v197 offset0:29 offset1:204
	ds_read2_b32 v[103:104], v103 offset0:33 offset1:208
	ds_read_b32 v178, v139 offset:7660
	s_waitcnt lgkmcnt(5)
	v_lshrrev_b32_e32 v200, 16, v105
	v_lshrrev_b32_e32 v201, 16, v106
	s_waitcnt lgkmcnt(4)
	v_lshrrev_b32_e32 v180, 16, v97
	v_lshrrev_b32_e32 v182, 16, v98
	;; [unrolled: 3-line block ×5, first 2 shown]
	s_waitcnt lgkmcnt(0)
	v_lshrrev_b32_e32 v179, 16, v178
.LBB0_7:
	s_or_b32 exec_lo, exec_lo, s0
	s_waitcnt lgkmcnt(4)
	v_lshrrev_b32_e32 v197, 16, v108
	v_mul_f16_sdwa v205, v12, v108 dst_sel:DWORD dst_unused:UNUSED_PAD src0_sel:WORD_1 src1_sel:DWORD
	v_lshrrev_b32_e32 v199, 16, v124
	v_lshrrev_b32_e32 v203, 16, v122
	;; [unrolled: 1-line block ×3, first 2 shown]
	v_mul_f16_sdwa v230, v12, v197 dst_sel:DWORD dst_unused:UNUSED_PAD src0_sel:WORD_1 src1_sel:DWORD
	v_fma_f16 v234, v12, v197, -v205
	v_lshrrev_b32_e32 v207, 16, v116
	v_lshrrev_b32_e32 v208, 16, v131
	;; [unrolled: 1-line block ×3, first 2 shown]
	v_fmac_f16_e32 v230, v12, v108
	v_mul_f16_sdwa v12, v14, v124 dst_sel:DWORD dst_unused:UNUSED_PAD src0_sel:WORD_1 src1_sel:DWORD
	v_mul_f16_sdwa v108, v8, v203 dst_sel:DWORD dst_unused:UNUSED_PAD src0_sel:WORD_1 src1_sel:DWORD
	;; [unrolled: 1-line block ×5, first 2 shown]
	v_fma_f16 v236, v14, v199, -v12
	v_mul_f16_sdwa v12, v8, v122 dst_sel:DWORD dst_unused:UNUSED_PAD src0_sel:WORD_1 src1_sel:DWORD
	v_fmac_f16_e32 v108, v8, v122
	s_waitcnt lgkmcnt(3)
	v_lshrrev_b32_e32 v202, 16, v135
	v_lshrrev_b32_e32 v204, 16, v133
	v_lshrrev_b32_e32 v212, 16, v138
	v_fma_f16 v203, v8, v203, -v12
	v_mul_f16_sdwa v8, v10, v116 dst_sel:DWORD dst_unused:UNUSED_PAD src0_sel:WORD_1 src1_sel:DWORD
	v_fmac_f16_e32 v232, v13, v137
	v_fma_f16 v233, v13, v198, -v233
	v_mul_f16_sdwa v13, v15, v135 dst_sel:DWORD dst_unused:UNUSED_PAD src0_sel:WORD_1 src1_sel:DWORD
	v_mul_f16_sdwa v239, v11, v208 dst_sel:DWORD dst_unused:UNUSED_PAD src0_sel:WORD_1 src1_sel:DWORD
	v_fma_f16 v207, v10, v207, -v8
	v_mul_f16_sdwa v8, v11, v131 dst_sel:DWORD dst_unused:UNUSED_PAD src0_sel:WORD_1 src1_sel:DWORD
	v_fmac_f16_e32 v238, v10, v116
	v_mul_f16_sdwa v10, v92, v210 dst_sel:DWORD dst_unused:UNUSED_PAD src0_sel:WORD_1 src1_sel:DWORD
	v_lshrrev_b32_e32 v209, 16, v112
	v_mul_f16_sdwa v205, v15, v202 dst_sel:DWORD dst_unused:UNUSED_PAD src0_sel:WORD_1 src1_sel:DWORD
	v_fma_f16 v208, v11, v208, -v8
	v_mul_f16_sdwa v8, v92, v129 dst_sel:DWORD dst_unused:UNUSED_PAD src0_sel:WORD_1 src1_sel:DWORD
	v_fma_f16 v237, v15, v202, -v13
	v_mul_f16_sdwa v202, v9, v204 dst_sel:DWORD dst_unused:UNUSED_PAD src0_sel:WORD_1 src1_sel:DWORD
	v_mul_f16_sdwa v13, v9, v133 dst_sel:DWORD dst_unused:UNUSED_PAD src0_sel:WORD_1 src1_sel:DWORD
	v_fmac_f16_e32 v10, v92, v129
	v_fma_f16 v92, v92, v210, -v8
	v_mul_f16_sdwa v197, v21, v212 dst_sel:DWORD dst_unused:UNUSED_PAD src0_sel:WORD_1 src1_sel:DWORD
	v_mul_f16_sdwa v8, v21, v138 dst_sel:DWORD dst_unused:UNUSED_PAD src0_sel:WORD_1 src1_sel:DWORD
	s_waitcnt lgkmcnt(1)
	v_lshrrev_b32_e32 v213, 16, v125
	v_lshrrev_b32_e32 v215, 16, v119
	v_fmac_f16_e32 v202, v9, v133
	v_fma_f16 v204, v9, v204, -v13
	v_mul_f16_sdwa v240, v91, v209 dst_sel:DWORD dst_unused:UNUSED_PAD src0_sel:WORD_1 src1_sel:DWORD
	v_mul_f16_sdwa v9, v91, v112 dst_sel:DWORD dst_unused:UNUSED_PAD src0_sel:WORD_1 src1_sel:DWORD
	v_fmac_f16_e32 v197, v21, v138
	v_fma_f16 v138, v21, v212, -v8
	v_mul_f16_sdwa v8, v22, v125 dst_sel:DWORD dst_unused:UNUSED_PAD src0_sel:WORD_1 src1_sel:DWORD
	v_lshrrev_b32_e32 v211, 16, v127
	v_lshrrev_b32_e32 v216, 16, v134
	v_fmac_f16_e32 v240, v91, v112
	v_fma_f16 v209, v91, v209, -v9
	v_mul_f16_sdwa v9, v20, v127 dst_sel:DWORD dst_unused:UNUSED_PAD src0_sel:WORD_1 src1_sel:DWORD
	v_mul_f16_sdwa v112, v16, v215 dst_sel:DWORD dst_unused:UNUSED_PAD src0_sel:WORD_1 src1_sel:DWORD
	v_fma_f16 v137, v22, v213, -v8
	v_mul_f16_sdwa v8, v16, v119 dst_sel:DWORD dst_unused:UNUSED_PAD src0_sel:WORD_1 src1_sel:DWORD
	v_lshrrev_b32_e32 v214, 16, v136
	v_lshrrev_b32_e32 v217, 16, v117
	;; [unrolled: 1-line block ×3, first 2 shown]
	v_mul_f16_sdwa v235, v14, v199 dst_sel:DWORD dst_unused:UNUSED_PAD src0_sel:WORD_1 src1_sel:DWORD
	v_fma_f16 v199, v20, v211, -v9
	v_mul_f16_sdwa v9, v23, v136 dst_sel:DWORD dst_unused:UNUSED_PAD src0_sel:WORD_1 src1_sel:DWORD
	v_fmac_f16_e32 v112, v16, v119
	v_mul_f16_sdwa v116, v17, v216 dst_sel:DWORD dst_unused:UNUSED_PAD src0_sel:WORD_1 src1_sel:DWORD
	v_fma_f16 v119, v16, v215, -v8
	v_mul_f16_sdwa v8, v18, v117 dst_sel:DWORD dst_unused:UNUSED_PAD src0_sel:WORD_1 src1_sel:DWORD
	v_lshrrev_b32_e32 v220, 16, v130
	v_fmac_f16_e32 v205, v15, v135
	v_mul_f16_sdwa v135, v22, v213 dst_sel:DWORD dst_unused:UNUSED_PAD src0_sel:WORD_1 src1_sel:DWORD
	v_fma_f16 v129, v23, v214, -v9
	v_mul_f16_sdwa v9, v17, v134 dst_sel:DWORD dst_unused:UNUSED_PAD src0_sel:WORD_1 src1_sel:DWORD
	v_fmac_f16_e32 v116, v17, v134
	v_mul_f16_sdwa v134, v19, v218 dst_sel:DWORD dst_unused:UNUSED_PAD src0_sel:WORD_1 src1_sel:DWORD
	v_fma_f16 v133, v18, v217, -v8
	v_mul_f16_sdwa v8, v19, v132 dst_sel:DWORD dst_unused:UNUSED_PAD src0_sel:WORD_1 src1_sel:DWORD
	v_fmac_f16_e32 v235, v14, v124
	v_mul_f16_sdwa v124, v20, v211 dst_sel:DWORD dst_unused:UNUSED_PAD src0_sel:WORD_1 src1_sel:DWORD
	v_fmac_f16_e32 v135, v22, v125
	v_fmac_f16_e32 v134, v19, v132
	v_mul_f16_sdwa v125, v96, v220 dst_sel:DWORD dst_unused:UNUSED_PAD src0_sel:WORD_1 src1_sel:DWORD
	v_fma_f16 v132, v19, v218, -v8
	v_mul_f16_sdwa v8, v96, v130 dst_sel:DWORD dst_unused:UNUSED_PAD src0_sel:WORD_1 src1_sel:DWORD
	v_lshrrev_b32_e32 v222, 16, v123
	v_fmac_f16_e32 v124, v20, v127
	v_mul_f16_sdwa v127, v23, v214 dst_sel:DWORD dst_unused:UNUSED_PAD src0_sel:WORD_1 src1_sel:DWORD
	v_fmac_f16_e32 v125, v96, v130
	v_fma_f16 v130, v96, v220, -v8
	v_mul_f16_sdwa v8, v29, v123 dst_sel:DWORD dst_unused:UNUSED_PAD src0_sel:WORD_1 src1_sel:DWORD
	v_lshrrev_b32_e32 v223, 16, v126
	v_fmac_f16_e32 v127, v23, v136
	s_waitcnt lgkmcnt(0)
	v_lshrrev_b32_e32 v219, 16, v113
	v_lshrrev_b32_e32 v221, 16, v128
	v_fma_f16 v23, v29, v222, -v8
	v_mul_f16_sdwa v8, v30, v126 dst_sel:DWORD dst_unused:UNUSED_PAD src0_sel:WORD_1 src1_sel:DWORD
	v_lshrrev_b32_e32 v225, 16, v120
	v_fma_f16 v122, v17, v216, -v9
	v_mul_f16_sdwa v9, v95, v113 dst_sel:DWORD dst_unused:UNUSED_PAD src0_sel:WORD_1 src1_sel:DWORD
	v_add_f16_e32 v13, v109, v230
	v_fma_f16 v19, v30, v223, -v8
	v_mul_f16_sdwa v8, v24, v120 dst_sel:DWORD dst_unused:UNUSED_PAD src0_sel:WORD_1 src1_sel:DWORD
	v_add_f16_sdwa v16, v109, v234 dst_sel:DWORD dst_unused:UNUSED_PAD src0_sel:WORD_1 src1_sel:DWORD
	v_lshrrev_b32_e32 v226, 16, v115
	v_fma_f16 v198, v95, v219, -v9
	v_mul_f16_sdwa v91, v28, v221 dst_sel:DWORD dst_unused:UNUSED_PAD src0_sel:WORD_1 src1_sel:DWORD
	v_mul_f16_sdwa v9, v28, v128 dst_sel:DWORD dst_unused:UNUSED_PAD src0_sel:WORD_1 src1_sel:DWORD
	v_fma_f16 v12, v24, v225, -v8
	v_mul_f16_sdwa v8, v25, v115 dst_sel:DWORD dst_unused:UNUSED_PAD src0_sel:WORD_1 src1_sel:DWORD
	v_add_f16_e32 v17, v13, v232
	v_add_f16_e32 v20, v16, v233
	v_lshrrev_b32_e32 v227, 16, v118
	v_fmac_f16_e32 v91, v28, v128
	v_fma_f16 v28, v28, v221, -v9
	v_mul_f16_sdwa v9, v24, v225 dst_sel:DWORD dst_unused:UNUSED_PAD src0_sel:WORD_1 src1_sel:DWORD
	v_fma_f16 v13, v25, v226, -v8
	v_add_f16_e32 v8, v17, v235
	v_add_f16_e32 v17, v20, v236
	v_mul_f16_sdwa v16, v26, v227 dst_sel:DWORD dst_unused:UNUSED_PAD src0_sel:WORD_1 src1_sel:DWORD
	v_fmac_f16_e32 v9, v24, v120
	v_mul_f16_sdwa v21, v26, v118 dst_sel:DWORD dst_unused:UNUSED_PAD src0_sel:WORD_1 src1_sel:DWORD
	v_add_f16_e32 v8, v8, v205
	v_add_f16_e32 v24, v17, v237
	v_lshrrev_b32_e32 v224, 16, v121
	v_fmac_f16_e32 v239, v11, v131
	v_mul_f16_sdwa v11, v31, v121 dst_sel:DWORD dst_unused:UNUSED_PAD src0_sel:WORD_1 src1_sel:DWORD
	v_fmac_f16_e32 v16, v26, v118
	v_fma_f16 v17, v26, v227, -v21
	v_add_f16_e32 v8, v8, v108
	v_add_f16_e32 v26, v24, v203
	v_lshrrev_b32_e32 v228, 16, v111
	v_fma_f16 v15, v31, v224, -v11
	v_mul_f16_sdwa v11, v25, v226 dst_sel:DWORD dst_unused:UNUSED_PAD src0_sel:WORD_1 src1_sel:DWORD
	v_add_f16_e32 v8, v8, v202
	v_add_f16_e32 v26, v26, v204
	v_lshrrev_b32_e32 v229, 16, v114
	v_mul_f16_sdwa v131, v18, v217 dst_sel:DWORD dst_unused:UNUSED_PAD src0_sel:WORD_1 src1_sel:DWORD
	v_fmac_f16_e32 v11, v25, v115
	v_mul_f16_sdwa v20, v27, v228 dst_sel:DWORD dst_unused:UNUSED_PAD src0_sel:WORD_1 src1_sel:DWORD
	v_mul_f16_sdwa v25, v27, v111 dst_sel:DWORD dst_unused:UNUSED_PAD src0_sel:WORD_1 src1_sel:DWORD
	v_add_f16_e32 v8, v8, v238
	v_add_f16_e32 v26, v26, v207
	v_lshrrev_b32_e32 v231, 16, v206
	v_fmac_f16_e32 v131, v18, v117
	v_mul_f16_sdwa v22, v29, v222 dst_sel:DWORD dst_unused:UNUSED_PAD src0_sel:WORD_1 src1_sel:DWORD
	v_mul_f16_sdwa v18, v30, v223 dst_sel:DWORD dst_unused:UNUSED_PAD src0_sel:WORD_1 src1_sel:DWORD
	;; [unrolled: 1-line block ×3, first 2 shown]
	v_fmac_f16_e32 v20, v27, v111
	v_fma_f16 v21, v27, v228, -v25
	v_mul_f16_sdwa v24, v93, v229 dst_sel:DWORD dst_unused:UNUSED_PAD src0_sel:WORD_1 src1_sel:DWORD
	v_mul_f16_sdwa v25, v93, v114 dst_sel:DWORD dst_unused:UNUSED_PAD src0_sel:WORD_1 src1_sel:DWORD
	v_sub_f16_e32 v27, v234, v92
	v_add_f16_e32 v8, v8, v239
	v_add_f16_e32 v26, v26, v208
	v_mul_f16_sdwa v136, v95, v219 dst_sel:DWORD dst_unused:UNUSED_PAD src0_sel:WORD_1 src1_sel:DWORD
	v_fmac_f16_e32 v22, v29, v123
	v_fmac_f16_e32 v18, v30, v126
	v_fmac_f16_e32 v14, v31, v121
	v_mul_f16_sdwa v111, v94, v231 dst_sel:DWORD dst_unused:UNUSED_PAD src0_sel:WORD_1 src1_sel:DWORD
	v_fmac_f16_e32 v24, v93, v114
	v_fma_f16 v25, v93, v229, -v25
	v_mul_f16_sdwa v29, v94, v206 dst_sel:DWORD dst_unused:UNUSED_PAD src0_sel:WORD_1 src1_sel:DWORD
	v_add_f16_e32 v30, v230, v10
	v_mul_f16_e32 v31, 0xb853, v27
	v_add_f16_e32 v93, v234, v92
	v_add_f16_e32 v8, v8, v240
	;; [unrolled: 1-line block ×3, first 2 shown]
	v_fmac_f16_e32 v136, v95, v113
	v_fmac_f16_e32 v111, v94, v206
	v_sub_f16_e32 v95, v230, v10
	v_fmamk_f16 v96, v30, 0x3abb, v31
	v_mul_f16_e32 v113, 0x3abb, v93
	v_fma_f16 v118, v94, v231, -v29
	v_add_f16_e32 v8, v8, v10
	v_add_f16_e32 v10, v26, v92
	v_mul_f16_e32 v92, 0xbb47, v27
	v_mul_f16_e32 v94, 0x36a6, v93
	v_mul_f16_e32 v115, 0xbbeb, v27
	v_mul_f16_e32 v120, 0xb08e, v93
	v_mul_f16_e32 v121, 0xba0c, v27
	v_mul_f16_e32 v128, 0xb93d, v93
	v_mul_f16_e32 v27, 0xb482, v27
	v_mul_f16_e32 v93, 0xbbad, v93
	v_sub_f16_e32 v212, v233, v209
	v_add_f16_e32 v26, v109, v96
	v_fmamk_f16 v29, v95, 0x3853, v113
	v_fma_f16 v31, v30, 0x3abb, -v31
	v_fmac_f16_e32 v113, 0xb853, v95
	v_fmamk_f16 v96, v30, 0x36a6, v92
	v_fmamk_f16 v114, v95, 0x3b47, v94
	v_fma_f16 v92, v30, 0x36a6, -v92
	v_fmac_f16_e32 v94, 0xbb47, v95
	v_fmamk_f16 v117, v30, 0xb08e, v115
	;; [unrolled: 4-line block ×4, first 2 shown]
	v_fmamk_f16 v211, v95, 0x3482, v93
	v_add_f16_e32 v213, v232, v240
	v_add_f16_e32 v209, v233, v209
	v_mul_f16_e32 v214, 0xbb47, v212
	v_fma_f16 v27, v30, 0xbbad, -v27
	v_fmac_f16_e32 v93, 0xb482, v95
	v_add_f16_sdwa v29, v109, v29 dst_sel:DWORD dst_unused:UNUSED_PAD src0_sel:WORD_1 src1_sel:DWORD
	v_add_f16_e32 v31, v109, v31
	v_add_f16_sdwa v113, v109, v113 dst_sel:DWORD dst_unused:UNUSED_PAD src0_sel:WORD_1 src1_sel:DWORD
	v_add_f16_e32 v96, v109, v96
	;; [unrolled: 2-line block ×8, first 2 shown]
	v_add_f16_sdwa v211, v109, v211 dst_sel:DWORD dst_unused:UNUSED_PAD src0_sel:WORD_1 src1_sel:DWORD
	v_sub_f16_e32 v30, v232, v240
	v_mul_f16_e32 v95, 0x36a6, v209
	v_fmamk_f16 v215, v213, 0x36a6, v214
	v_add_f16_e32 v27, v109, v27
	v_add_f16_sdwa v93, v109, v93 dst_sel:DWORD dst_unused:UNUSED_PAD src0_sel:WORD_1 src1_sel:DWORD
	v_mul_f16_e32 v109, 0xba0c, v212
	v_fmamk_f16 v216, v30, 0x3b47, v95
	v_add_f16_e32 v26, v215, v26
	v_fmac_f16_e32 v95, 0xbb47, v30
	v_fma_f16 v214, v213, 0x36a6, -v214
	v_fmamk_f16 v215, v213, 0xb93d, v109
	v_fma_f16 v109, v213, 0xb93d, -v109
	v_add_f16_e32 v29, v216, v29
	v_add_f16_e32 v95, v95, v113
	v_mul_f16_e32 v113, 0x3482, v212
	v_add_f16_e32 v96, v215, v96
	v_mul_f16_e32 v215, 0xbbad, v209
	v_mul_f16_e32 v216, 0xb93d, v209
	v_add_f16_e32 v92, v109, v92
	v_fmamk_f16 v217, v213, 0xbbad, v113
	v_fma_f16 v113, v213, 0xbbad, -v113
	v_fmamk_f16 v109, v30, 0xb482, v215
	v_fmac_f16_e32 v215, 0x3482, v30
	v_add_f16_e32 v31, v214, v31
	v_fmamk_f16 v214, v30, 0x3a0c, v216
	v_add_f16_e32 v113, v113, v115
	v_add_f16_e32 v109, v109, v123
	v_mul_f16_e32 v123, 0xb08e, v209
	v_add_f16_e32 v115, v215, v120
	v_mul_f16_e32 v120, 0x3853, v212
	v_fmac_f16_e32 v216, 0xba0c, v30
	v_add_f16_e32 v114, v214, v114
	v_mul_f16_e32 v214, 0x3beb, v212
	v_fmamk_f16 v212, v30, 0xbbeb, v123
	v_fmac_f16_e32 v123, 0x3beb, v30
	v_fmamk_f16 v215, v213, 0x3abb, v120
	v_add_f16_e32 v94, v216, v94
	v_fmamk_f16 v216, v213, 0xb08e, v214
	v_fma_f16 v214, v213, 0xb08e, -v214
	v_mul_f16_e32 v209, 0x3abb, v209
	v_add_f16_e32 v123, v123, v128
	v_add_f16_e32 v128, v215, v210
	v_sub_f16_e32 v210, v236, v208
	v_add_f16_e32 v208, v236, v208
	v_add_f16_e32 v206, v212, v206
	v_add_f16_e32 v121, v214, v121
	v_fmamk_f16 v212, v30, 0xb853, v209
	v_fma_f16 v120, v213, 0x3abb, -v120
	v_add_f16_e32 v213, v235, v239
	v_mul_f16_e32 v214, 0xbbeb, v210
	v_fmac_f16_e32 v209, 0x3853, v30
	v_sub_f16_e32 v30, v235, v239
	v_mul_f16_e32 v215, 0xb08e, v208
	v_add_f16_e32 v211, v212, v211
	v_fmamk_f16 v212, v213, 0xb08e, v214
	v_add_f16_e32 v27, v120, v27
	v_add_f16_e32 v93, v209, v93
	v_fmamk_f16 v120, v30, 0x3beb, v215
	v_mul_f16_e32 v209, 0x3482, v210
	v_add_f16_e32 v26, v212, v26
	v_fma_f16 v212, v213, 0xb08e, -v214
	v_mul_f16_e32 v214, 0xbbad, v208
	v_add_f16_e32 v29, v120, v29
	v_fmamk_f16 v120, v213, 0xbbad, v209
	v_add_f16_e32 v126, v216, v126
	v_fma_f16 v209, v213, 0xbbad, -v209
	v_mul_f16_e32 v216, 0x36a6, v208
	v_fmac_f16_e32 v215, 0xbbeb, v30
	v_add_f16_e32 v96, v120, v96
	v_fmamk_f16 v120, v30, 0xb482, v214
	v_add_f16_e32 v92, v209, v92
	v_mul_f16_e32 v209, 0xb853, v210
	v_add_f16_e32 v31, v212, v31
	v_mul_f16_e32 v212, 0x3b47, v210
	v_add_f16_e32 v114, v120, v114
	v_fmamk_f16 v120, v30, 0xbb47, v216
	v_fmac_f16_e32 v214, 0x3482, v30
	v_add_f16_e32 v95, v215, v95
	v_fmamk_f16 v215, v213, 0x36a6, v212
	v_fma_f16 v212, v213, 0x36a6, -v212
	v_add_f16_e32 v109, v120, v109
	v_fmamk_f16 v120, v213, 0x3abb, v209
	v_add_f16_e32 v94, v214, v94
	v_mul_f16_e32 v214, 0x3abb, v208
	v_mul_f16_e32 v210, 0xba0c, v210
	v_add_f16_e32 v113, v212, v113
	v_add_f16_e32 v120, v120, v126
	v_fma_f16 v126, v213, 0x3abb, -v209
	v_fmamk_f16 v212, v30, 0x3853, v214
	v_fmac_f16_e32 v214, 0xb853, v30
	v_fmamk_f16 v209, v213, 0xb93d, v210
	v_mul_f16_e32 v208, 0xb93d, v208
	v_add_f16_e32 v121, v126, v121
	v_sub_f16_e32 v126, v237, v207
	v_add_f16_e32 v207, v237, v207
	v_fmac_f16_e32 v216, 0x3b47, v30
	v_add_f16_e32 v206, v212, v206
	v_add_f16_e32 v123, v214, v123
	;; [unrolled: 1-line block ×3, first 2 shown]
	v_fmamk_f16 v209, v30, 0x3a0c, v208
	v_add_f16_e32 v212, v205, v238
	v_mul_f16_e32 v214, 0xba0c, v126
	v_fma_f16 v210, v213, 0xb93d, -v210
	v_fmac_f16_e32 v208, 0xba0c, v30
	v_sub_f16_e32 v30, v205, v238
	v_mul_f16_e32 v205, 0xb93d, v207
	v_fmamk_f16 v213, v212, 0xb93d, v214
	v_add_f16_e32 v27, v210, v27
	v_add_f16_e32 v93, v208, v93
	v_mul_f16_e32 v210, 0x3beb, v126
	v_fmamk_f16 v208, v30, 0x3a0c, v205
	v_fmac_f16_e32 v205, 0xba0c, v30
	v_add_f16_e32 v117, v217, v117
	v_add_f16_e32 v209, v209, v211
	;; [unrolled: 1-line block ×3, first 2 shown]
	v_fma_f16 v211, v212, 0xb93d, -v214
	v_add_f16_e32 v29, v208, v29
	v_mul_f16_e32 v208, 0xb08e, v207
	v_fmamk_f16 v213, v212, 0xb08e, v210
	v_add_f16_e32 v95, v205, v95
	v_mul_f16_e32 v205, 0xb853, v126
	v_add_f16_e32 v117, v215, v117
	v_add_f16_e32 v31, v211, v31
	v_fmamk_f16 v211, v30, 0xbbeb, v208
	v_add_f16_e32 v96, v213, v96
	v_fmac_f16_e32 v208, 0x3beb, v30
	v_fmamk_f16 v213, v212, 0x3abb, v205
	v_fma_f16 v205, v212, 0x3abb, -v205
	v_fma_f16 v210, v212, 0xb08e, -v210
	v_add_f16_e32 v114, v211, v114
	v_add_f16_e32 v94, v208, v94
	;; [unrolled: 1-line block ×3, first 2 shown]
	v_mul_f16_e32 v208, 0xb482, v126
	v_mul_f16_e32 v213, 0xbbad, v207
	;; [unrolled: 1-line block ×3, first 2 shown]
	v_add_f16_e32 v113, v205, v113
	v_mul_f16_e32 v126, 0x3b47, v126
	v_fmamk_f16 v214, v212, 0xbbad, v208
	v_fmamk_f16 v205, v30, 0x3482, v213
	v_fma_f16 v208, v212, 0xbbad, -v208
	v_add_f16_e32 v115, v216, v115
	v_add_f16_e32 v92, v210, v92
	v_fmamk_f16 v210, v30, 0x3853, v211
	v_fmac_f16_e32 v211, 0xb853, v30
	v_add_f16_e32 v205, v205, v206
	v_mul_f16_e32 v206, 0x36a6, v207
	v_fmamk_f16 v207, v212, 0x36a6, v126
	v_add_f16_e32 v121, v208, v121
	v_sub_f16_e32 v208, v203, v204
	v_add_f16_e32 v109, v210, v109
	v_add_f16_e32 v115, v211, v115
	v_fmamk_f16 v210, v30, 0xbb47, v206
	v_add_f16_e32 v128, v207, v128
	v_add_f16_e32 v207, v108, v202
	v_mul_f16_e32 v211, 0xb482, v208
	v_add_f16_e32 v203, v203, v204
	v_fmac_f16_e32 v206, 0x3b47, v30
	v_fmac_f16_e32 v213, 0xb482, v30
	v_fma_f16 v126, v212, 0x36a6, -v126
	v_fmamk_f16 v30, v207, 0xbbad, v211
	v_sub_f16_e32 v202, v108, v202
	v_mul_f16_e32 v108, 0xbbad, v203
	v_add_f16_e32 v204, v206, v93
	v_mul_f16_e32 v93, 0x3853, v208
	v_add_f16_e32 v209, v210, v209
	v_add_f16_e32 v126, v126, v27
	;; [unrolled: 1-line block ×3, first 2 shown]
	v_fmamk_f16 v26, v202, 0x3482, v108
	v_fma_f16 v206, v207, 0xbbad, -v211
	v_mul_f16_e32 v210, 0x3abb, v203
	v_fmamk_f16 v211, v207, 0x3abb, v93
	v_fmac_f16_e32 v108, 0xb482, v202
	v_add_f16_e32 v30, v26, v29
	v_add_f16_e32 v26, v206, v31
	v_fmamk_f16 v206, v202, 0xb853, v210
	v_add_f16_e32 v31, v211, v96
	v_mul_f16_e32 v96, 0xba0c, v208
	v_mul_f16_e32 v211, 0xb93d, v203
	v_add_f16_e32 v29, v108, v95
	v_add_f16_e32 v95, v206, v114
	v_fma_f16 v93, v207, 0x3abb, -v93
	v_fmac_f16_e32 v210, 0x3853, v202
	v_fmamk_f16 v108, v207, 0xb93d, v96
	v_fmamk_f16 v114, v202, 0x3a0c, v211
	v_fma_f16 v206, v207, 0xb93d, -v96
	v_add_f16_e32 v92, v93, v92
	v_add_f16_e32 v93, v210, v94
	;; [unrolled: 1-line block ×6, first 2 shown]
	v_add_f16_sdwa v114, v110, v199 dst_sel:DWORD dst_unused:UNUSED_PAD src0_sel:WORD_1 src1_sel:DWORD
	v_fmac_f16_e32 v211, 0xba0c, v202
	v_mul_f16_e32 v117, 0x3b47, v208
	v_add_f16_e32 v120, v214, v120
	v_add_f16_e32 v113, v113, v197
	;; [unrolled: 1-line block ×3, first 2 shown]
	v_mul_f16_e32 v206, 0x36a6, v203
	v_add_f16_e32 v109, v211, v115
	v_fmamk_f16 v115, v207, 0x36a6, v117
	v_fma_f16 v117, v207, 0x36a6, -v117
	v_add_f16_e32 v211, v113, v135
	v_add_f16_e32 v212, v114, v137
	v_fmamk_f16 v210, v202, 0xbb47, v206
	v_add_f16_e32 v114, v115, v120
	v_add_f16_e32 v113, v117, v121
	;; [unrolled: 1-line block ×6, first 2 shown]
	v_fmac_f16_e32 v206, 0x3b47, v202
	v_mul_f16_e32 v121, 0xbbeb, v208
	v_add_f16_e32 v205, v117, v112
	v_add_f16_e32 v120, v120, v119
	v_mul_f16_e32 v203, 0xb08e, v203
	v_add_f16_e32 v117, v206, v123
	v_fmamk_f16 v123, v207, 0xb08e, v121
	v_add_f16_e32 v205, v205, v116
	v_add_f16_e32 v120, v120, v122
	v_fmamk_f16 v206, v202, 0x3beb, v203
	v_fma_f16 v207, v207, 0xb08e, -v121
	v_add_f16_e32 v121, v123, v128
	v_add_f16_e32 v128, v205, v131
	v_add_f16_e32 v205, v120, v133
	v_add_f16_e32 v123, v206, v209
	v_add_f16_e32 v120, v207, v126
	v_sub_f16_e32 v206, v199, v130
	v_add_f16_e32 v126, v128, v134
	v_add_f16_e32 v128, v205, v132
	;; [unrolled: 1-line block ×3, first 2 shown]
	v_fmac_f16_e32 v203, 0xbbeb, v202
	v_add_f16_e32 v202, v124, v125
	v_mul_f16_e32 v205, 0xb853, v206
	v_add_f16_e32 v207, v126, v136
	v_add_f16_e32 v128, v128, v198
	v_sub_f16_e32 v208, v124, v125
	v_mul_f16_e32 v210, 0x3abb, v199
	v_fmamk_f16 v209, v202, 0x3abb, v205
	v_add_f16_e32 v126, v203, v204
	v_add_f16_e32 v124, v207, v125
	;; [unrolled: 1-line block ×3, first 2 shown]
	v_fmamk_f16 v130, v208, 0x3853, v210
	v_mul_f16_e32 v203, 0xbb47, v206
	v_fma_f16 v204, v202, 0x3abb, -v205
	v_fmac_f16_e32 v210, 0xb853, v208
	v_mul_f16_e32 v205, 0x36a6, v199
	v_mul_f16_e32 v211, 0xbbeb, v206
	;; [unrolled: 1-line block ×7, first 2 shown]
	v_sub_f16_e32 v221, v138, v198
	v_add_f16_e32 v138, v138, v198
	v_add_f16_e32 v128, v110, v209
	v_fmamk_f16 v207, v202, 0x36a6, v203
	v_add_f16_sdwa v209, v110, v210 dst_sel:DWORD dst_unused:UNUSED_PAD src0_sel:WORD_1 src1_sel:DWORD
	v_fmamk_f16 v210, v208, 0x3b47, v205
	v_fma_f16 v203, v202, 0x36a6, -v203
	v_fmac_f16_e32 v205, 0xbb47, v208
	v_fmamk_f16 v212, v202, 0xb08e, v211
	v_fmamk_f16 v215, v208, 0x3beb, v213
	v_fma_f16 v211, v202, 0xb08e, -v211
	v_fmac_f16_e32 v213, 0xbbeb, v208
	v_fmamk_f16 v216, v202, 0xb93d, v214
	;; [unrolled: 4-line block ×3, first 2 shown]
	v_fmamk_f16 v220, v208, 0x3482, v199
	v_add_f16_e32 v222, v197, v136
	v_mul_f16_e32 v198, 0xbb47, v221
	v_fma_f16 v202, v202, 0xbbad, -v206
	v_fmac_f16_e32 v199, 0xb482, v208
	v_sub_f16_e32 v136, v197, v136
	v_mul_f16_e32 v197, 0x36a6, v138
	v_add_f16_sdwa v130, v110, v130 dst_sel:DWORD dst_unused:UNUSED_PAD src0_sel:WORD_1 src1_sel:DWORD
	v_add_f16_e32 v204, v110, v204
	v_add_f16_e32 v207, v110, v207
	v_add_f16_sdwa v210, v110, v210 dst_sel:DWORD dst_unused:UNUSED_PAD src0_sel:WORD_1 src1_sel:DWORD
	v_add_f16_e32 v203, v110, v203
	v_add_f16_sdwa v205, v110, v205 dst_sel:DWORD dst_unused:UNUSED_PAD src0_sel:WORD_1 src1_sel:DWORD
	;; [unrolled: 2-line block ×7, first 2 shown]
	v_fmamk_f16 v206, v222, 0x36a6, v198
	v_add_f16_e32 v202, v110, v202
	v_add_f16_sdwa v110, v110, v199 dst_sel:DWORD dst_unused:UNUSED_PAD src0_sel:WORD_1 src1_sel:DWORD
	v_mul_f16_e32 v199, 0xba0c, v221
	v_fmamk_f16 v208, v136, 0x3b47, v197
	v_add_f16_e32 v128, v206, v128
	v_fma_f16 v198, v222, 0x36a6, -v198
	v_fmac_f16_e32 v197, 0xbb47, v136
	v_fmamk_f16 v206, v222, 0xb93d, v199
	v_add_f16_e32 v130, v208, v130
	v_mul_f16_e32 v208, 0xb93d, v138
	v_add_f16_e32 v198, v198, v204
	v_add_f16_e32 v197, v197, v209
	;; [unrolled: 1-line block ×3, first 2 shown]
	v_mul_f16_e32 v206, 0x3482, v221
	v_fmamk_f16 v207, v136, 0x3a0c, v208
	v_fma_f16 v199, v222, 0xb93d, -v199
	v_fmac_f16_e32 v208, 0xba0c, v136
	v_mul_f16_e32 v209, 0xbbad, v138
	v_fmamk_f16 v223, v222, 0xbbad, v206
	v_add_f16_e32 v207, v207, v210
	v_add_f16_e32 v199, v199, v203
	;; [unrolled: 1-line block ×3, first 2 shown]
	v_fmamk_f16 v205, v136, 0xb482, v209
	v_mul_f16_e32 v210, 0x3beb, v221
	v_fma_f16 v206, v222, 0xbbad, -v206
	v_add_f16_e32 v208, v223, v212
	v_fmac_f16_e32 v209, 0x3482, v136
	v_add_f16_e32 v205, v205, v215
	v_fmamk_f16 v215, v222, 0xb08e, v210
	v_add_f16_e32 v206, v206, v211
	v_mul_f16_e32 v211, 0x3853, v221
	v_mul_f16_e32 v212, 0xb08e, v138
	v_fma_f16 v210, v222, 0xb08e, -v210
	v_add_f16_e32 v215, v215, v216
	v_add_f16_e32 v209, v209, v213
	v_fmamk_f16 v216, v222, 0x3abb, v211
	v_fmamk_f16 v213, v136, 0xbbeb, v212
	v_fmac_f16_e32 v212, 0x3beb, v136
	v_mul_f16_e32 v138, 0x3abb, v138
	v_add_f16_e32 v210, v210, v214
	v_add_f16_e32 v214, v216, v219
	v_sub_f16_e32 v216, v137, v132
	v_add_f16_e32 v132, v137, v132
	v_add_f16_e32 v213, v213, v218
	;; [unrolled: 1-line block ×3, first 2 shown]
	v_fmamk_f16 v217, v136, 0xb853, v138
	v_fma_f16 v211, v222, 0x3abb, -v211
	v_add_f16_e32 v137, v135, v134
	v_mul_f16_e32 v218, 0xbbeb, v216
	v_fmac_f16_e32 v138, 0x3853, v136
	v_sub_f16_e32 v134, v135, v134
	v_mul_f16_e32 v135, 0xb08e, v132
	v_add_f16_e32 v136, v217, v220
	v_fmamk_f16 v217, v137, 0xb08e, v218
	v_add_f16_e32 v202, v211, v202
	v_add_f16_e32 v110, v138, v110
	v_fmamk_f16 v138, v134, 0x3beb, v135
	v_mul_f16_e32 v211, 0x3482, v216
	v_fmac_f16_e32 v135, 0xbbeb, v134
	v_add_f16_e32 v128, v217, v128
	v_fma_f16 v217, v137, 0xb08e, -v218
	v_add_f16_e32 v130, v138, v130
	v_fmamk_f16 v138, v137, 0xbbad, v211
	v_mul_f16_e32 v218, 0xbbad, v132
	v_add_f16_e32 v135, v135, v197
	v_mul_f16_e32 v197, 0x3b47, v216
	v_add_f16_e32 v198, v217, v198
	v_add_f16_e32 v138, v138, v204
	v_fmamk_f16 v204, v134, 0xb482, v218
	v_fma_f16 v211, v137, 0xbbad, -v211
	v_fmamk_f16 v217, v137, 0x36a6, v197
	v_mul_f16_e32 v219, 0x36a6, v132
	v_fma_f16 v197, v137, 0x36a6, -v197
	v_add_f16_e32 v204, v204, v207
	v_add_f16_e32 v199, v211, v199
	;; [unrolled: 1-line block ×3, first 2 shown]
	v_fmamk_f16 v208, v134, 0xbb47, v219
	v_mul_f16_e32 v211, 0xb853, v216
	v_fmac_f16_e32 v219, 0x3b47, v134
	v_mul_f16_e32 v217, 0x3abb, v132
	v_add_f16_e32 v197, v197, v206
	v_add_f16_e32 v205, v208, v205
	v_fmamk_f16 v208, v137, 0x3abb, v211
	v_add_f16_e32 v206, v219, v209
	v_fmamk_f16 v209, v134, 0x3853, v217
	v_mul_f16_e32 v216, 0xba0c, v216
	v_fma_f16 v211, v137, 0x3abb, -v211
	v_fmac_f16_e32 v217, 0xb853, v134
	v_mul_f16_e32 v132, 0xb93d, v132
	v_add_f16_e32 v209, v209, v213
	v_fmamk_f16 v213, v137, 0xb93d, v216
	v_add_f16_e32 v210, v211, v210
	v_add_f16_e32 v211, v217, v212
	v_sub_f16_e32 v212, v129, v133
	v_add_f16_e32 v129, v129, v133
	v_add_f16_e32 v208, v208, v215
	v_add_f16_e32 v213, v213, v214
	v_fmamk_f16 v214, v134, 0x3a0c, v132
	v_add_f16_e32 v215, v127, v131
	v_mul_f16_e32 v133, 0xba0c, v212
	v_fmac_f16_e32 v132, 0xba0c, v134
	v_sub_f16_e32 v127, v127, v131
	v_mul_f16_e32 v131, 0xb93d, v129
	v_fmac_f16_e32 v218, 0x3482, v134
	v_fmamk_f16 v134, v215, 0xb93d, v133
	v_add_f16_e32 v110, v132, v110
	v_fma_f16 v137, v137, 0xb93d, -v216
	v_fmamk_f16 v132, v127, 0x3a0c, v131
	v_fma_f16 v133, v215, 0xb93d, -v133
	v_add_f16_e32 v128, v134, v128
	v_mul_f16_e32 v134, 0x3beb, v212
	v_fmac_f16_e32 v131, 0xba0c, v127
	v_add_f16_e32 v130, v132, v130
	v_mul_f16_e32 v132, 0xb08e, v129
	v_add_f16_e32 v137, v137, v202
	v_fmamk_f16 v202, v215, 0xb08e, v134
	v_add_f16_e32 v133, v133, v198
	v_add_f16_e32 v131, v131, v135
	v_mul_f16_e32 v135, 0xb853, v212
	v_fmamk_f16 v198, v127, 0xbbeb, v132
	v_add_f16_e32 v203, v218, v203
	v_add_f16_e32 v138, v202, v138
	v_fma_f16 v134, v215, 0xb08e, -v134
	v_fmac_f16_e32 v132, 0x3beb, v127
	v_fmamk_f16 v202, v215, 0x3abb, v135
	v_add_f16_e32 v198, v198, v204
	v_mul_f16_e32 v204, 0x3abb, v129
	v_add_f16_e32 v134, v134, v199
	v_add_f16_e32 v132, v132, v203
	;; [unrolled: 1-line block ×3, first 2 shown]
	v_mul_f16_e32 v202, 0xb482, v212
	v_fmamk_f16 v203, v127, 0x3853, v204
	v_fma_f16 v135, v215, 0x3abb, -v135
	v_mul_f16_e32 v207, 0xbbad, v129
	v_fmac_f16_e32 v204, 0xb853, v127
	v_add_f16_e32 v136, v214, v136
	v_fmamk_f16 v214, v215, 0xbbad, v202
	v_add_f16_e32 v135, v135, v197
	v_fmamk_f16 v197, v127, 0x3482, v207
	v_add_f16_e32 v204, v204, v206
	v_mul_f16_e32 v206, 0x3b47, v212
	v_add_f16_e32 v203, v203, v205
	v_add_f16_e32 v205, v214, v208
	;; [unrolled: 1-line block ×3, first 2 shown]
	v_fmac_f16_e32 v207, 0xb482, v127
	v_fmamk_f16 v208, v215, 0x36a6, v206
	v_sub_f16_e32 v209, v119, v122
	v_fma_f16 v202, v215, 0xbbad, -v202
	v_mul_f16_e32 v129, 0x36a6, v129
	v_add_f16_e32 v207, v207, v211
	v_add_f16_e32 v208, v208, v213
	;; [unrolled: 1-line block ×3, first 2 shown]
	v_mul_f16_e32 v212, 0xb482, v209
	v_add_f16_e32 v213, v119, v122
	v_add_f16_e32 v202, v202, v210
	v_fmamk_f16 v210, v127, 0xbb47, v129
	v_fma_f16 v119, v215, 0x36a6, -v206
	v_fmac_f16_e32 v129, 0x3b47, v127
	v_fmamk_f16 v122, v211, 0xbbad, v212
	v_sub_f16_e32 v206, v112, v116
	v_mul_f16_e32 v116, 0xbbad, v213
	v_mul_f16_e32 v127, 0x3853, v209
	v_add_f16_e32 v215, v129, v110
	v_add_f16_e32 v112, v122, v128
	v_fma_f16 v122, v211, 0xbbad, -v212
	v_fmamk_f16 v110, v206, 0x3482, v116
	v_fmamk_f16 v129, v211, 0x3abb, v127
	v_add_f16_e32 v214, v119, v137
	v_fmac_f16_e32 v116, 0xb482, v206
	v_mul_f16_e32 v128, 0x3abb, v213
	v_add_f16_e32 v119, v110, v130
	v_add_f16_e32 v110, v122, v133
	;; [unrolled: 1-line block ×3, first 2 shown]
	v_mul_f16_e32 v129, 0xba0c, v209
	v_add_f16_e32 v116, v116, v131
	v_mul_f16_e32 v133, 0xb93d, v213
	v_fma_f16 v127, v211, 0x3abb, -v127
	v_add_f16_e32 v210, v210, v136
	v_fmamk_f16 v131, v211, 0xb93d, v129
	v_fma_f16 v129, v211, 0xb93d, -v129
	v_fmamk_f16 v130, v206, 0xb853, v128
	v_fmac_f16_e32 v128, 0x3853, v206
	v_fmamk_f16 v136, v206, 0x3a0c, v133
	v_add_f16_e32 v127, v127, v134
	v_add_f16_e32 v129, v129, v135
	v_mul_f16_e32 v135, 0x3b47, v209
	v_add_f16_e32 v134, v107, v91
	v_add_f16_e32 v130, v130, v198
	;; [unrolled: 1-line block ×4, first 2 shown]
	v_add_f16_sdwa v136, v107, v28 dst_sel:DWORD dst_unused:UNUSED_PAD src0_sel:WORD_1 src1_sel:DWORD
	v_fmamk_f16 v138, v211, 0x36a6, v135
	v_add_f16_e32 v198, v134, v22
	v_mul_f16_e32 v137, 0x36a6, v213
	v_add_f16_e32 v131, v131, v199
	v_add_f16_e32 v136, v136, v23
	v_add_f16_e32 v134, v138, v205
	v_add_f16_e32 v138, v198, v18
	v_fmamk_f16 v199, v206, 0xbb47, v137
	v_fma_f16 v135, v211, 0x36a6, -v135
	v_add_f16_e32 v198, v136, v19
	v_fmac_f16_e32 v133, 0xba0c, v206
	v_add_f16_e32 v138, v138, v14
	v_add_f16_e32 v136, v199, v197
	v_mul_f16_e32 v197, 0xbbeb, v209
	v_add_f16_e32 v198, v198, v15
	v_add_f16_e32 v135, v135, v202
	;; [unrolled: 1-line block ×3, first 2 shown]
	v_mul_f16_e32 v202, 0xb08e, v213
	v_fmamk_f16 v199, v211, 0xb08e, v197
	v_add_f16_e32 v198, v198, v12
	v_add_f16_e32 v133, v133, v204
	;; [unrolled: 1-line block ×3, first 2 shown]
	v_fmac_f16_e32 v137, 0x3b47, v206
	v_add_f16_e32 v138, v199, v208
	v_fmamk_f16 v199, v206, 0x3beb, v202
	v_add_f16_e32 v198, v198, v13
	v_fmac_f16_e32 v202, 0xbbeb, v206
	v_add_f16_e32 v203, v203, v16
	v_fma_f16 v204, v211, 0xb08e, -v197
	v_add_f16_e32 v197, v199, v210
	v_add_f16_e32 v205, v198, v17
	;; [unrolled: 1-line block ×3, first 2 shown]
	v_sub_f16_e32 v202, v28, v118
	v_add_f16_e32 v203, v203, v20
	v_add_f16_e32 v137, v137, v207
	;; [unrolled: 1-line block ×6, first 2 shown]
	v_mul_f16_e32 v207, 0xb853, v202
	v_add_f16_e32 v28, v203, v24
	v_add_f16_e32 v203, v204, v25
	v_sub_f16_e32 v204, v91, v111
	v_mul_f16_e32 v208, 0x3abb, v206
	v_fmamk_f16 v209, v205, 0x3abb, v207
	v_add_f16_e32 v28, v28, v111
	v_mul_f16_e32 v111, 0xbb47, v202
	v_mul_f16_e32 v210, 0x36a6, v206
	;; [unrolled: 1-line block ×8, first 2 shown]
	v_sub_f16_e32 v221, v23, v25
	v_add_f16_e32 v23, v23, v25
	v_add_f16_e32 v91, v203, v118
	v_fmamk_f16 v118, v204, 0x3853, v208
	v_add_f16_e32 v203, v107, v209
	v_fma_f16 v207, v205, 0x3abb, -v207
	v_fmac_f16_e32 v208, 0xb853, v204
	v_fmamk_f16 v209, v205, 0x36a6, v111
	v_fmamk_f16 v212, v204, 0x3b47, v210
	v_fma_f16 v111, v205, 0x36a6, -v111
	v_fmac_f16_e32 v210, 0xbb47, v204
	v_fmamk_f16 v214, v205, 0xb08e, v211
	v_fmamk_f16 v215, v204, 0x3beb, v213
	;; [unrolled: 4-line block ×4, first 2 shown]
	v_fma_f16 v202, v205, 0xbbad, -v202
	v_add_f16_e32 v25, v22, v24
	v_mul_f16_e32 v205, 0xbb47, v221
	v_fmac_f16_e32 v206, 0xb482, v204
	v_sub_f16_e32 v22, v22, v24
	v_mul_f16_e32 v24, 0x36a6, v23
	v_add_f16_sdwa v118, v107, v118 dst_sel:DWORD dst_unused:UNUSED_PAD src0_sel:WORD_1 src1_sel:DWORD
	v_add_f16_e32 v207, v107, v207
	v_add_f16_sdwa v208, v107, v208 dst_sel:DWORD dst_unused:UNUSED_PAD src0_sel:WORD_1 src1_sel:DWORD
	v_add_f16_e32 v209, v107, v209
	;; [unrolled: 2-line block ×8, first 2 shown]
	v_add_f16_sdwa v204, v107, v222 dst_sel:DWORD dst_unused:UNUSED_PAD src0_sel:WORD_1 src1_sel:DWORD
	v_fmamk_f16 v222, v25, 0x36a6, v205
	v_add_f16_e32 v202, v107, v202
	v_add_f16_sdwa v107, v107, v206 dst_sel:DWORD dst_unused:UNUSED_PAD src0_sel:WORD_1 src1_sel:DWORD
	v_fmamk_f16 v206, v22, 0x3b47, v24
	v_mul_f16_e32 v223, 0xba0c, v221
	v_fma_f16 v205, v25, 0x36a6, -v205
	v_add_f16_e32 v203, v222, v203
	v_fmac_f16_e32 v24, 0xbb47, v22
	v_add_f16_e32 v118, v206, v118
	v_fmamk_f16 v206, v25, 0xb93d, v223
	v_mul_f16_e32 v222, 0xb93d, v23
	v_add_f16_e32 v205, v205, v207
	v_mul_f16_e32 v207, 0x3482, v221
	v_add_f16_e32 v24, v24, v208
	v_add_f16_e32 v206, v206, v209
	v_fmamk_f16 v208, v22, 0x3a0c, v222
	v_fma_f16 v209, v25, 0xb93d, -v223
	v_fmac_f16_e32 v222, 0xba0c, v22
	v_fmamk_f16 v223, v25, 0xbbad, v207
	v_mul_f16_e32 v224, 0xbbad, v23
	v_add_f16_e32 v208, v208, v212
	v_add_f16_e32 v111, v209, v111
	v_add_f16_e32 v209, v222, v210
	v_add_f16_e32 v210, v223, v214
	v_fmamk_f16 v212, v22, 0xb482, v224
	v_mul_f16_e32 v214, 0x3beb, v221
	v_fma_f16 v207, v25, 0xbbad, -v207
	v_mul_f16_e32 v222, 0xb08e, v23
	v_mul_f16_e32 v221, 0x3853, v221
	v_add_f16_e32 v212, v212, v215
	v_fmamk_f16 v215, v25, 0xb08e, v214
	v_fma_f16 v214, v25, 0xb08e, -v214
	v_add_f16_e32 v207, v207, v211
	v_fmamk_f16 v211, v22, 0xbbeb, v222
	v_fmac_f16_e32 v222, 0x3beb, v22
	v_add_f16_e32 v215, v215, v218
	v_fmamk_f16 v218, v25, 0x3abb, v221
	v_add_f16_e32 v214, v214, v216
	v_sub_f16_e32 v216, v19, v21
	v_mul_f16_e32 v23, 0x3abb, v23
	v_add_f16_e32 v217, v222, v217
	v_add_f16_e32 v218, v218, v220
	;; [unrolled: 1-line block ×3, first 2 shown]
	v_mul_f16_e32 v222, 0xbbeb, v216
	v_add_f16_e32 v19, v19, v21
	v_fmac_f16_e32 v224, 0x3482, v22
	v_add_f16_e32 v211, v211, v219
	v_fmamk_f16 v219, v22, 0xb853, v23
	v_fma_f16 v21, v25, 0x3abb, -v221
	v_fmac_f16_e32 v23, 0x3853, v22
	v_sub_f16_e32 v18, v18, v20
	v_fmamk_f16 v20, v220, 0xb08e, v222
	v_mul_f16_e32 v22, 0xb08e, v19
	v_add_f16_e32 v25, v219, v204
	v_add_f16_e32 v21, v21, v202
	;; [unrolled: 1-line block ×4, first 2 shown]
	v_fmamk_f16 v107, v18, 0x3beb, v22
	v_mul_f16_e32 v202, 0x3482, v216
	v_fma_f16 v203, v220, 0xb08e, -v222
	v_fmac_f16_e32 v22, 0xbbeb, v18
	v_mul_f16_e32 v204, 0xbbad, v19
	v_add_f16_e32 v107, v107, v118
	v_fmamk_f16 v118, v220, 0xbbad, v202
	v_add_f16_e32 v203, v203, v205
	v_add_f16_e32 v22, v22, v24
	v_fmamk_f16 v24, v18, 0xb482, v204
	v_mul_f16_e32 v205, 0x3b47, v216
	v_fma_f16 v202, v220, 0xbbad, -v202
	v_fmac_f16_e32 v204, 0x3482, v18
	v_add_f16_e32 v118, v118, v206
	v_add_f16_e32 v24, v24, v208
	v_fmamk_f16 v206, v220, 0x36a6, v205
	v_mul_f16_e32 v208, 0x36a6, v19
	v_add_f16_e32 v111, v202, v111
	v_add_f16_e32 v202, v204, v209
	v_mul_f16_e32 v204, 0xb853, v216
	v_add_f16_e32 v213, v224, v213
	v_add_f16_e32 v206, v206, v210
	v_fmamk_f16 v209, v18, 0xbb47, v208
	v_fma_f16 v205, v220, 0x36a6, -v205
	v_fmac_f16_e32 v208, 0x3b47, v18
	v_fmamk_f16 v210, v220, 0x3abb, v204
	v_mul_f16_e32 v219, 0x3abb, v19
	v_mul_f16_e32 v19, 0xb93d, v19
	v_add_f16_e32 v209, v209, v212
	v_add_f16_e32 v205, v205, v207
	;; [unrolled: 1-line block ×4, first 2 shown]
	v_fmamk_f16 v210, v18, 0x3853, v219
	v_mul_f16_e32 v212, 0xba0c, v216
	v_fmamk_f16 v213, v18, 0x3a0c, v19
	v_sub_f16_e32 v215, v15, v17
	v_add_f16_e32 v15, v15, v17
	v_add_f16_e32 v210, v210, v211
	v_fmamk_f16 v211, v220, 0xb93d, v212
	v_add_f16_e32 v25, v213, v25
	v_add_f16_e32 v213, v14, v16
	v_mul_f16_e32 v17, 0xba0c, v215
	v_fma_f16 v212, v220, 0xb93d, -v212
	v_fmac_f16_e32 v19, 0xba0c, v18
	v_sub_f16_e32 v14, v14, v16
	v_mul_f16_e32 v16, 0xb93d, v15
	v_fmac_f16_e32 v219, 0xb853, v18
	v_fmamk_f16 v18, v213, 0xb93d, v17
	v_add_f16_e32 v21, v212, v21
	v_add_f16_e32 v19, v19, v23
	v_mul_f16_e32 v23, 0x3beb, v215
	v_fmamk_f16 v212, v14, 0x3a0c, v16
	v_add_f16_e32 v18, v18, v20
	v_fma_f16 v17, v213, 0xb93d, -v17
	v_fmac_f16_e32 v16, 0xba0c, v14
	v_fmamk_f16 v20, v213, 0xb08e, v23
	v_add_f16_e32 v107, v212, v107
	v_mul_f16_e32 v212, 0xb08e, v15
	v_add_f16_e32 v17, v17, v203
	v_add_f16_e32 v16, v16, v22
	v_add_f16_e32 v20, v20, v118
	v_mul_f16_e32 v22, 0xb853, v215
	v_fmamk_f16 v118, v14, 0xbbeb, v212
	v_mul_f16_e32 v203, 0x3abb, v15
	v_fma_f16 v23, v213, 0xb08e, -v23
	v_fmac_f16_e32 v212, 0x3beb, v14
	v_fmamk_f16 v216, v213, 0x3abb, v22
	v_add_f16_e32 v24, v118, v24
	v_fmamk_f16 v118, v14, 0x3853, v203
	v_add_f16_e32 v23, v23, v111
	v_add_f16_e32 v111, v212, v202
	;; [unrolled: 1-line block ×3, first 2 shown]
	v_mul_f16_e32 v206, 0xb482, v215
	v_fma_f16 v22, v213, 0x3abb, -v22
	v_fmac_f16_e32 v203, 0xb853, v14
	v_add_f16_e32 v118, v118, v209
	v_mul_f16_e32 v209, 0xbbad, v15
	v_fma_f16 v204, v220, 0x3abb, -v204
	v_fmamk_f16 v212, v213, 0xbbad, v206
	v_add_f16_e32 v22, v22, v205
	v_add_f16_e32 v203, v203, v207
	v_mul_f16_e32 v205, 0x3b47, v215
	v_fmamk_f16 v207, v14, 0x3482, v209
	v_add_f16_e32 v204, v204, v214
	v_add_f16_e32 v214, v219, v217
	;; [unrolled: 1-line block ×4, first 2 shown]
	v_fma_f16 v206, v213, 0xbbad, -v206
	v_fmac_f16_e32 v209, 0xb482, v14
	v_fmamk_f16 v212, v213, 0x36a6, v205
	v_add_f16_e32 v207, v207, v210
	v_mul_f16_e32 v15, 0x36a6, v15
	v_sub_f16_e32 v210, v12, v13
	v_add_f16_e32 v12, v12, v13
	v_add_f16_e32 v204, v206, v204
	;; [unrolled: 1-line block ×4, first 2 shown]
	v_fmamk_f16 v211, v14, 0xbb47, v15
	v_fma_f16 v205, v213, 0x36a6, -v205
	v_add_f16_e32 v13, v9, v11
	v_mul_f16_e32 v212, 0xb482, v210
	v_fmac_f16_e32 v15, 0x3b47, v14
	v_sub_f16_e32 v9, v9, v11
	v_mul_f16_e32 v11, 0xbbad, v12
	v_add_f16_e32 v14, v211, v25
	v_fmamk_f16 v25, v13, 0xbbad, v212
	v_add_f16_e32 v21, v205, v21
	v_add_f16_e32 v15, v15, v19
	v_fmamk_f16 v19, v9, 0x3482, v11
	v_mul_f16_e32 v205, 0x3853, v210
	v_fmac_f16_e32 v11, 0xb482, v9
	v_add_f16_e32 v18, v25, v18
	v_fma_f16 v25, v13, 0xbbad, -v212
	v_add_f16_e32 v19, v19, v107
	v_fmamk_f16 v107, v13, 0x3abb, v205
	v_mul_f16_e32 v211, 0x3abb, v12
	v_add_f16_e32 v11, v11, v16
	v_mul_f16_e32 v16, 0xba0c, v210
	v_add_f16_e32 v17, v25, v17
	v_add_f16_e32 v20, v107, v20
	v_fmamk_f16 v25, v9, 0xb853, v211
	v_fma_f16 v107, v13, 0x3abb, -v205
	v_fmac_f16_e32 v211, 0x3853, v9
	v_fmamk_f16 v205, v13, 0xb93d, v16
	v_mul_f16_e32 v212, 0xb93d, v12
	v_add_f16_e32 v24, v25, v24
	v_add_f16_e32 v23, v107, v23
	;; [unrolled: 1-line block ×4, first 2 shown]
	v_fmamk_f16 v111, v9, 0x3a0c, v212
	v_mul_f16_e32 v202, 0x3b47, v210
	v_fma_f16 v16, v13, 0xb93d, -v16
	v_fmac_f16_e32 v212, 0xba0c, v9
	v_mul_f16_e32 v205, 0x36a6, v12
	v_add_f16_e32 v111, v111, v118
	v_fmamk_f16 v118, v13, 0x36a6, v202
	v_add_f16_e32 v16, v16, v22
	v_add_f16_e32 v22, v212, v203
	v_fmamk_f16 v203, v9, 0xbb47, v205
	v_fma_f16 v202, v13, 0x36a6, -v202
	v_add_f16_e32 v118, v118, v208
	v_mul_f16_e32 v208, 0xbbeb, v210
	v_mul_f16_e32 v12, 0xb08e, v12
	v_add_f16_e32 v203, v203, v207
	v_add_f16_e32 v202, v202, v204
	v_pack_b32_f16 v8, v8, v10
	v_fmamk_f16 v204, v13, 0xb08e, v208
	v_fmamk_f16 v207, v9, 0x3beb, v12
	v_fma_f16 v13, v13, 0xb08e, -v208
	v_fmac_f16_e32 v12, 0xbbeb, v9
	v_pack_b32_f16 v10, v27, v30
	v_pack_b32_f16 v27, v114, v115
	;; [unrolled: 1-line block ×3, first 2 shown]
	v_add_f16_e32 v13, v13, v21
	v_add_f16_e32 v12, v12, v15
	v_pack_b32_f16 v15, v31, v95
	v_pack_b32_f16 v21, v96, v108
	s_barrier
	buffer_gl0_inv
	ds_write2_b32 v188, v8, v10 offset1:7
	ds_write2_b32 v188, v15, v21 offset0:14 offset1:21
	ds_write2_b32 v188, v27, v30 offset0:28 offset1:35
	v_pack_b32_f16 v8, v120, v126
	v_pack_b32_f16 v10, v113, v117
	;; [unrolled: 1-line block ×4, first 2 shown]
	v_fmac_f16_e32 v205, 0x3b47, v9
	v_pack_b32_f16 v26, v26, v29
	v_pack_b32_f16 v27, v124, v125
	;; [unrolled: 1-line block ×5, first 2 shown]
	ds_write2_b32 v188, v8, v10 offset0:42 offset1:49
	ds_write2_b32 v188, v15, v21 offset0:56 offset1:63
	ds_write_b32 v188, v26 offset:280
	ds_write2_b32 v189, v27, v29 offset1:7
	ds_write2_b32 v189, v30, v31 offset0:14 offset1:21
	v_pack_b32_f16 v8, v134, v136
	v_pack_b32_f16 v10, v138, v197
	v_add_f16_e32 v204, v204, v209
	v_add_f16_e32 v14, v207, v14
	v_pack_b32_f16 v15, v198, v199
	v_pack_b32_f16 v21, v135, v137
	v_add_f16_e32 v9, v205, v206
	v_pack_b32_f16 v26, v129, v133
	v_pack_b32_f16 v27, v127, v128
	;; [unrolled: 1-line block ×5, first 2 shown]
	ds_write2_b32 v189, v8, v10 offset0:28 offset1:35
	ds_write2_b32 v189, v15, v21 offset0:42 offset1:49
	;; [unrolled: 1-line block ×3, first 2 shown]
	ds_write_b32 v189, v29 offset:280
	ds_write2_b32 v190, v28, v18 offset1:7
	v_pack_b32_f16 v8, v20, v24
	v_pack_b32_f16 v10, v107, v111
	;; [unrolled: 1-line block ×9, first 2 shown]
	ds_write2_b32 v190, v8, v10 offset0:14 offset1:21
	ds_write2_b32 v190, v15, v14 offset0:28 offset1:35
	;; [unrolled: 1-line block ×4, first 2 shown]
	ds_write_b32 v190, v11 offset:280
	s_and_saveexec_b32 s0, vcc_lo
	s_cbranch_execz .LBB0_9
; %bb.8:
	v_mul_f16_sdwa v8, v90, v178 dst_sel:DWORD dst_unused:UNUSED_PAD src0_sel:WORD_1 src1_sel:DWORD
	v_mul_f16_sdwa v9, v4, v106 dst_sel:DWORD dst_unused:UNUSED_PAD src0_sel:WORD_1 src1_sel:DWORD
	;; [unrolled: 1-line block ×5, first 2 shown]
	v_fma_f16 v8, v90, v179, -v8
	v_fma_f16 v9, v4, v201, -v9
	v_mul_f16_sdwa v13, v5, v97 dst_sel:DWORD dst_unused:UNUSED_PAD src0_sel:WORD_1 src1_sel:DWORD
	v_fmac_f16_e32 v10, v4, v106
	v_fmac_f16_e32 v11, v90, v178
	v_fma_f16 v12, v89, v181, -v12
	v_add_f16_e32 v14, v8, v9
	v_fma_f16 v13, v5, v180, -v13
	v_mul_f16_sdwa v15, v5, v180 dst_sel:DWORD dst_unused:UNUSED_PAD src0_sel:WORD_1 src1_sel:DWORD
	v_mul_f16_sdwa v16, v89, v181 dst_sel:DWORD dst_unused:UNUSED_PAD src0_sel:WORD_1 src1_sel:DWORD
	;; [unrolled: 1-line block ×4, first 2 shown]
	v_mul_f16_e32 v17, 0xbbad, v14
	v_sub_f16_e32 v18, v10, v11
	v_add_f16_e32 v19, v12, v13
	v_fmac_f16_e32 v15, v5, v97
	v_fmac_f16_e32 v16, v89, v100
	v_fma_f16 v21, v3, v183, -v21
	v_fma_f16 v22, v6, v182, -v22
	v_mul_f16_sdwa v24, v6, v182 dst_sel:DWORD dst_unused:UNUSED_PAD src0_sel:WORD_1 src1_sel:DWORD
	v_mul_f16_sdwa v25, v3, v183 dst_sel:DWORD dst_unused:UNUSED_PAD src0_sel:WORD_1 src1_sel:DWORD
	;; [unrolled: 1-line block ×4, first 2 shown]
	v_fmamk_f16 v5, v18, 0x3482, v17
	v_mul_f16_e32 v20, 0x3abb, v19
	v_sub_f16_e32 v4, v15, v16
	v_add_f16_e32 v28, v21, v22
	v_fmac_f16_e32 v24, v6, v98
	v_fmac_f16_e32 v25, v3, v99
	v_fma_f16 v3, v2, v185, -v26
	v_fma_f16 v6, v7, v186, -v27
	v_mul_f16_sdwa v26, v7, v186 dst_sel:DWORD dst_unused:UNUSED_PAD src0_sel:WORD_1 src1_sel:DWORD
	v_mul_f16_sdwa v27, v2, v185 dst_sel:DWORD dst_unused:UNUSED_PAD src0_sel:WORD_1 src1_sel:DWORD
	v_add_f16_e32 v5, v200, v5
	v_fmamk_f16 v23, v4, 0xb853, v20
	v_mul_f16_e32 v29, 0xb93d, v28
	v_sub_f16_e32 v30, v24, v25
	v_add_f16_e32 v31, v3, v6
	v_fmac_f16_e32 v26, v7, v103
	v_fmac_f16_e32 v27, v2, v102
	v_add_f16_e32 v2, v23, v5
	v_fmamk_f16 v5, v30, 0x3a0c, v29
	v_mul_f16_e32 v7, 0x36a6, v31
	v_mul_f16_sdwa v89, v1, v101 dst_sel:DWORD dst_unused:UNUSED_PAD src0_sel:WORD_1 src1_sel:DWORD
	v_sub_f16_e32 v23, v26, v27
	v_mul_f16_sdwa v90, v0, v104 dst_sel:DWORD dst_unused:UNUSED_PAD src0_sel:WORD_1 src1_sel:DWORD
	v_add_f16_e32 v2, v5, v2
	v_mul_f16_sdwa v91, v0, v184 dst_sel:DWORD dst_unused:UNUSED_PAD src0_sel:WORD_1 src1_sel:DWORD
	v_mul_f16_sdwa v92, v1, v187 dst_sel:DWORD dst_unused:UNUSED_PAD src0_sel:WORD_1 src1_sel:DWORD
	v_fmamk_f16 v5, v23, 0xbb47, v7
	v_add_f16_e32 v93, v11, v10
	v_sub_f16_e32 v96, v13, v12
	v_fma_f16 v90, v0, v184, -v90
	v_fmac_f16_e32 v91, v0, v104
	v_add_f16_e32 v2, v5, v2
	v_fma_f16 v5, v1, v187, -v89
	v_sub_f16_e32 v89, v9, v8
	v_fmac_f16_e32 v92, v1, v101
	v_add_f16_e32 v1, v16, v15
	v_mul_f16_e32 v97, 0x3853, v96
	v_sub_f16_e32 v99, v22, v21
	v_mul_f16_e32 v94, 0xb482, v89
	v_add_f16_e32 v102, v25, v24
	v_add_f16_e32 v107, v27, v26
	v_fmamk_f16 v101, v1, 0x3abb, v97
	v_mul_f16_e32 v103, 0xba0c, v99
	v_fmamk_f16 v0, v93, 0xbbad, v94
	v_add_f16_e32 v112, v92, v91
	v_mul_f16_e32 v116, 0xba0c, v89
	v_mul_f16_e32 v118, 0x3beb, v96
	v_fmamk_f16 v106, v102, 0xb93d, v103
	v_add_f16_e32 v0, v105, v0
	v_mul_f16_e32 v121, 0xb853, v99
	v_mul_f16_e32 v128, 0xbbeb, v89
	v_fmamk_f16 v120, v1, 0xb08e, v118
	v_mul_f16_e32 v130, 0x3482, v96
	v_add_f16_e32 v0, v101, v0
	v_sub_f16_e32 v101, v6, v3
	v_mul_f16_e32 v133, 0x3b47, v99
	v_add_f16_e32 v95, v5, v90
	v_fmamk_f16 v132, v1, 0xbbad, v130
	v_add_f16_e32 v0, v106, v0
	v_mul_f16_e32 v108, 0x3b47, v101
	v_sub_f16_e32 v106, v90, v5
	v_mul_f16_e32 v123, 0xb482, v101
	v_mul_f16_e32 v135, 0xb853, v101
	;; [unrolled: 1-line block ×3, first 2 shown]
	v_fmamk_f16 v111, v107, 0x36a6, v108
	v_mul_f16_e32 v113, 0xbbeb, v106
	v_mul_f16_e32 v125, 0x3b47, v106
	v_sub_f16_e32 v100, v91, v92
	v_mul_f16_e32 v137, 0xba0c, v106
	v_add_f16_e32 v0, v111, v0
	v_fmamk_f16 v111, v112, 0xb08e, v113
	v_mul_f16_e32 v182, 0xba0c, v96
	v_fmamk_f16 v104, v100, 0x3beb, v98
	v_fmamk_f16 v179, v112, 0xb93d, v137
	v_mul_f16_e32 v122, 0xb08e, v14
	v_add_f16_e32 v0, v111, v0
	v_fmamk_f16 v111, v93, 0xb93d, v116
	v_add_f16_e32 v2, v104, v2
	v_mul_f16_e32 v104, 0xb93d, v14
	v_mul_f16_e32 v134, 0x36a6, v14
	;; [unrolled: 1-line block ×3, first 2 shown]
	v_add_f16_e32 v111, v105, v111
	v_mul_f16_e32 v14, 0x3abb, v14
	v_mul_f16_e32 v110, 0xb08e, v19
	;; [unrolled: 1-line block ×4, first 2 shown]
	v_add_f16_e32 v111, v120, v111
	v_fmamk_f16 v120, v102, 0x3abb, v121
	v_fmamk_f16 v184, v18, 0x3853, v14
	v_mul_f16_e32 v19, 0x36a6, v19
	v_mul_f16_e32 v115, 0x3abb, v28
	;; [unrolled: 1-line block ×3, first 2 shown]
	v_add_f16_e32 v111, v120, v111
	v_fmamk_f16 v120, v107, 0xbbad, v123
	v_mul_f16_e32 v178, 0xbbad, v28
	v_mul_f16_e32 v28, 0xb08e, v28
	v_add_f16_e32 v10, v105, v10
	v_add_f16_e32 v9, v9, v200
	;; [unrolled: 1-line block ×3, first 2 shown]
	v_fmamk_f16 v120, v112, 0x36a6, v125
	v_mul_f16_e32 v117, 0xbbad, v31
	v_mul_f16_e32 v129, 0x3abb, v31
	;; [unrolled: 1-line block ×4, first 2 shown]
	v_add_f16_e32 v111, v120, v111
	v_fmamk_f16 v120, v93, 0xb08e, v128
	v_add_f16_e32 v10, v15, v10
	v_add_f16_e32 v9, v13, v9
	v_fmamk_f16 v15, v23, 0x3a0c, v31
	v_fmamk_f16 v109, v18, 0x3a0c, v104
	v_add_f16_e32 v120, v105, v120
	v_add_f16_e32 v10, v24, v10
	;; [unrolled: 1-line block ×3, first 2 shown]
	v_mul_f16_e32 v24, 0xbb47, v96
	v_add_f16_e32 v109, v200, v109
	v_add_f16_e32 v120, v132, v120
	v_fmamk_f16 v132, v102, 0x36a6, v133
	v_add_f16_e32 v10, v26, v10
	v_add_f16_e32 v6, v6, v9
	v_fmamk_f16 v26, v1, 0x36a6, v24
	v_fmamk_f16 v114, v4, 0xbbeb, v110
	v_add_f16_e32 v120, v132, v120
	v_fmamk_f16 v132, v107, 0x3abb, v135
	v_add_f16_e32 v9, v91, v10
	v_mul_f16_e32 v10, 0xbbeb, v99
	v_add_f16_e32 v6, v90, v6
	v_mul_f16_e32 v90, 0xba0c, v101
	v_add_f16_e32 v120, v132, v120
	v_mul_f16_e32 v132, 0xbb47, v89
	v_mul_f16_e32 v89, 0xb853, v89
	v_add_f16_e32 v9, v92, v9
	v_add_f16_e32 v5, v5, v6
	;; [unrolled: 1-line block ×3, first 2 shown]
	v_fmamk_f16 v181, v93, 0x36a6, v132
	v_fmac_f16_e32 v17, 0xb482, v18
	v_add_f16_e32 v6, v27, v9
	v_add_f16_e32 v3, v3, v5
	;; [unrolled: 1-line block ×4, first 2 shown]
	v_fmamk_f16 v181, v1, 0xb93d, v182
	v_add_f16_e32 v5, v25, v6
	v_add_f16_e32 v3, v21, v3
	v_fmamk_f16 v114, v30, 0x3853, v115
	v_fmac_f16_e32 v20, 0x3853, v4
	v_add_f16_e32 v179, v181, v179
	v_fmamk_f16 v181, v102, 0xbbad, v183
	v_add_f16_e32 v5, v16, v5
	v_add_f16_e32 v3, v12, v3
	;; [unrolled: 1-line block ×3, first 2 shown]
	v_fmamk_f16 v114, v23, 0x3482, v117
	v_add_f16_e32 v179, v181, v179
	v_add_f16_e32 v181, v200, v184
	v_fmamk_f16 v184, v4, 0x3b47, v19
	v_mul_f16_e32 v119, 0x36a6, v95
	v_add_f16_e32 v5, v11, v5
	v_fmac_f16_e32 v29, 0xba0c, v30
	v_add_f16_e32 v3, v8, v3
	v_add_f16_e32 v181, v184, v181
	v_fmamk_f16 v184, v30, 0x3beb, v28
	v_fmac_f16_e32 v104, 0xba0c, v18
	v_add_f16_e32 v109, v114, v109
	v_fmamk_f16 v114, v100, 0xbb47, v119
	v_fmac_f16_e32 v7, 0x3b47, v23
	v_add_f16_e32 v181, v184, v181
	v_add_f16_e32 v12, v200, v104
	v_fmac_f16_e32 v110, 0x3beb, v4
	v_add_f16_e32 v109, v114, v109
	v_fmamk_f16 v114, v18, 0x3beb, v122
	v_add_f16_e32 v13, v15, v181
	v_fmamk_f16 v15, v93, 0x3abb, v89
	v_fmamk_f16 v126, v4, 0xb482, v124
	v_mul_f16_e32 v131, 0xb93d, v95
	v_add_f16_e32 v114, v200, v114
	v_fmamk_f16 v138, v4, 0x3a0c, v136
	v_add_f16_e32 v15, v105, v15
	v_fma_f16 v21, v1, 0xb93d, -v182
	v_fmac_f16_e32 v122, 0xbbeb, v18
	v_add_f16_e32 v114, v126, v114
	v_fmamk_f16 v126, v30, 0xbb47, v127
	v_add_f16_e32 v15, v26, v15
	v_fmamk_f16 v26, v102, 0xb08e, v10
	v_fmac_f16_e32 v14, 0xb853, v18
	v_add_f16_e32 v16, v200, v122
	v_add_f16_e32 v114, v126, v114
	v_fmamk_f16 v126, v23, 0x3853, v129
	v_add_f16_e32 v9, v26, v15
	v_fmamk_f16 v15, v107, 0xb93d, v90
	v_mul_f16_e32 v26, 0xb482, v106
	v_fmac_f16_e32 v124, 0x3482, v4
	v_add_f16_e32 v114, v126, v114
	v_fmamk_f16 v126, v100, 0x3a0c, v131
	v_add_f16_e32 v6, v15, v9
	v_fmamk_f16 v9, v112, 0xbbad, v26
	v_add_f16_e32 v15, v200, v17
	v_fma_f16 v17, v1, 0xbbad, -v130
	v_add_f16_e32 v114, v126, v114
	v_fmamk_f16 v126, v18, 0x3b47, v134
	v_add_f16_e32 v6, v9, v6
	v_fma_f16 v9, v93, 0xbbad, -v94
	v_add_f16_e32 v11, v20, v15
	v_fma_f16 v15, v1, 0xb08e, -v118
	v_add_f16_e32 v126, v200, v126
	v_fma_f16 v20, v112, 0xb93d, -v137
	v_add_f16_e32 v8, v105, v9
	v_fma_f16 v9, v1, 0x3abb, -v97
	v_add_f16_e32 v11, v29, v11
	v_add_f16_e32 v126, v138, v126
	v_fmamk_f16 v138, v30, 0xb482, v178
	v_fmac_f16_e32 v134, 0xbb47, v18
	v_add_f16_e32 v8, v9, v8
	v_fma_f16 v9, v102, 0xb93d, -v103
	v_add_f16_e32 v7, v7, v11
	v_add_f16_e32 v11, v110, v12
	v_fma_f16 v12, v93, 0xb93d, -v116
	v_add_f16_e32 v126, v138, v126
	v_add_f16_e32 v8, v9, v8
	v_fma_f16 v9, v107, 0x36a6, -v108
	v_fmamk_f16 v138, v23, 0xbbeb, v180
	v_add_f16_e32 v12, v105, v12
	v_fma_f16 v18, v102, 0xbbad, -v183
	v_fmac_f16_e32 v136, 0xba0c, v4
	v_add_f16_e32 v8, v9, v8
	v_fma_f16 v9, v112, 0xb08e, -v113
	v_add_f16_e32 v126, v138, v126
	v_mul_f16_e32 v138, 0x3abb, v95
	v_add_f16_e32 v14, v200, v14
	v_fmac_f16_e32 v19, 0xbb47, v4
	v_add_f16_e32 v8, v9, v8
	v_add_f16_e32 v9, v15, v12
	v_fma_f16 v12, v102, 0x3abb, -v121
	v_fma_f16 v15, v93, 0xb08e, -v128
	;; [unrolled: 1-line block ×3, first 2 shown]
	v_fmamk_f16 v185, v100, 0xb853, v138
	v_mul_f16_e32 v186, 0x3beb, v101
	v_add_f16_e32 v9, v12, v9
	v_fma_f16 v12, v107, 0xbbad, -v123
	v_add_f16_e32 v15, v105, v15
	v_mul_f16_e32 v22, 0xbbad, v95
	v_fmac_f16_e32 v115, 0xb853, v30
	v_add_f16_e32 v16, v124, v16
	v_add_f16_e32 v9, v12, v9
	v_fma_f16 v12, v112, 0x36a6, -v125
	v_add_f16_e32 v15, v17, v15
	v_fma_f16 v17, v102, 0x36a6, -v133
	v_fmac_f16_e32 v127, 0x3b47, v30
	v_fmac_f16_e32 v178, 0x3482, v30
	v_add_f16_e32 v9, v12, v9
	v_add_f16_e32 v14, v19, v14
	;; [unrolled: 1-line block ×3, first 2 shown]
	v_fma_f16 v15, v107, 0x3abb, -v135
	v_add_f16_e32 v17, v200, v134
	v_fmac_f16_e32 v28, 0xbbeb, v30
	v_fma_f16 v10, v102, 0xb08e, -v10
	v_fmamk_f16 v187, v107, 0xb08e, v186
	v_add_f16_e32 v12, v15, v12
	v_fma_f16 v15, v93, 0x36a6, -v132
	v_add_f16_e32 v17, v136, v17
	v_add_f16_e32 v126, v185, v126
	v_mul_f16_e32 v185, 0x3853, v106
	v_add_f16_e32 v12, v20, v12
	v_add_f16_e32 v15, v105, v15
	v_fma_f16 v20, v93, 0x3abb, -v89
	v_fmamk_f16 v91, v100, 0x3482, v22
	v_add_f16_e32 v11, v115, v11
	v_fmac_f16_e32 v117, 0xb482, v23
	v_add_f16_e32 v15, v21, v15
	v_add_f16_e32 v16, v127, v16
	v_fmac_f16_e32 v129, 0xb853, v23
	v_add_f16_e32 v17, v178, v17
	v_fmac_f16_e32 v180, 0x3beb, v23
	v_add_f16_e32 v4, v18, v15
	v_add_f16_e32 v15, v105, v20
	v_fma_f16 v18, v107, 0xb08e, -v186
	v_add_f16_e32 v14, v28, v14
	v_fmac_f16_e32 v31, 0xba0c, v23
	v_add_f16_e32 v179, v187, v179
	v_add_f16_e32 v1, v1, v15
	v_mov_b32_e32 v15, 0x4d
	v_fmamk_f16 v187, v112, 0x3abb, v185
	v_add_f16_e32 v13, v91, v13
	v_fmac_f16_e32 v98, 0xbbeb, v100
	v_add_f16_e32 v1, v10, v1
	v_fma_f16 v10, v107, 0xb93d, -v90
	v_mul_u32_u24_sdwa v15, v177, v15 dst_sel:DWORD dst_unused:UNUSED_PAD src0_sel:WORD_0 src1_sel:DWORD
	v_add_f16_e32 v11, v117, v11
	v_fmac_f16_e32 v119, 0x3b47, v100
	v_add_f16_e32 v16, v129, v16
	v_fmac_f16_e32 v131, 0xba0c, v100
	;; [unrolled: 2-line block ×3, first 2 shown]
	v_add_f16_e32 v4, v18, v4
	v_fma_f16 v18, v112, 0x3abb, -v185
	v_add_f16_e32 v14, v31, v14
	v_fmac_f16_e32 v22, 0xb482, v100
	v_add_f16_e32 v1, v10, v1
	v_fma_f16 v10, v112, 0xbbad, -v26
	v_add_f16_e32 v179, v187, v179
	v_add_lshl_u32 v15, v15, v176, 2
	v_pack_b32_f16 v3, v5, v3
	v_pack_b32_f16 v5, v6, v13
	v_add_f16_e32 v7, v98, v7
	v_add_f16_e32 v11, v119, v11
	;; [unrolled: 1-line block ×7, first 2 shown]
	ds_write2_b32 v15, v3, v5 offset1:7
	v_pack_b32_f16 v3, v179, v126
	v_pack_b32_f16 v5, v120, v114
	;; [unrolled: 1-line block ×9, first 2 shown]
	ds_write2_b32 v15, v3, v5 offset0:14 offset1:21
	ds_write2_b32 v15, v10, v0 offset0:28 offset1:35
	;; [unrolled: 1-line block ×4, first 2 shown]
	ds_write_b32 v15, v1 offset:280
.LBB0_9:
	s_or_b32 exec_lo, exec_lo, s0
	v_add_nc_u32_e32 v15, 0x400, v139
	v_add_nc_u32_e32 v19, 0xc00, v139
	;; [unrolled: 1-line block ×4, first 2 shown]
	s_waitcnt lgkmcnt(0)
	s_barrier
	buffer_gl0_inv
	ds_read2_b32 v[4:5], v139 offset1:55
	ds_read2_b32 v[0:1], v15 offset0:74 offset1:129
	ds_read2_b32 v[24:25], v19 offset0:2 offset1:57
	;; [unrolled: 1-line block ×7, first 2 shown]
	v_add_nc_u32_e32 v18, 0x800, v139
	v_add_nc_u32_e32 v10, 0x1400, v139
	ds_read2_b32 v[91:92], v19 offset0:112 offset1:167
	ds_read2_b32 v[93:94], v13 offset0:114 offset1:169
	ds_read2_b32 v[95:96], v18 offset0:38 offset1:93
	v_add_nc_u32_e32 v14, 0xe00, v139
	v_add_nc_u32_e32 v16, 0x1a00, v139
	ds_read2_b32 v[101:102], v10 offset0:40 offset1:95
	ds_read2_b32 v[107:108], v18 offset0:148 offset1:203
	;; [unrolled: 1-line block ×5, first 2 shown]
	ds_read_b32 v120, v139 offset:7480
	s_waitcnt lgkmcnt(16)
	v_lshrrev_b32_e32 v9, 16, v4
	s_waitcnt lgkmcnt(15)
	v_lshrrev_b32_e32 v97, 16, v1
	;; [unrolled: 2-line block ×3, first 2 shown]
	v_mul_f16_sdwa v134, v32, v1 dst_sel:DWORD dst_unused:UNUSED_PAD src0_sel:WORD_1 src1_sel:DWORD
	s_waitcnt lgkmcnt(12)
	v_lshrrev_b32_e32 v100, 16, v28
	s_waitcnt lgkmcnt(11)
	v_lshrrev_b32_e32 v111, 16, v30
	v_mul_f16_sdwa v133, v32, v97 dst_sel:DWORD dst_unused:UNUSED_PAD src0_sel:WORD_1 src1_sel:DWORD
	v_mul_f16_sdwa v138, v33, v98 dst_sel:DWORD dst_unused:UNUSED_PAD src0_sel:WORD_1 src1_sel:DWORD
	s_waitcnt lgkmcnt(9)
	v_lshrrev_b32_e32 v113, 16, v89
	v_lshrrev_b32_e32 v114, 16, v29
	;; [unrolled: 1-line block ×3, first 2 shown]
	v_fmac_f16_e32 v133, v32, v1
	v_mul_f16_sdwa v1, v33, v24 dst_sel:DWORD dst_unused:UNUSED_PAD src0_sel:WORD_1 src1_sel:DWORD
	v_fmac_f16_e32 v138, v33, v24
	v_mul_f16_sdwa v24, v48, v30 dst_sel:DWORD dst_unused:UNUSED_PAD src0_sel:WORD_1 src1_sel:DWORD
	v_mul_f16_sdwa v179, v48, v111 dst_sel:DWORD dst_unused:UNUSED_PAD src0_sel:WORD_1 src1_sel:DWORD
	;; [unrolled: 1-line block ×3, first 2 shown]
	v_fma_f16 v98, v33, v98, -v1
	v_mul_f16_sdwa v1, v35, v28 dst_sel:DWORD dst_unused:UNUSED_PAD src0_sel:WORD_1 src1_sel:DWORD
	v_fma_f16 v111, v48, v111, -v24
	v_mul_f16_sdwa v24, v51, v29 dst_sel:DWORD dst_unused:UNUSED_PAD src0_sel:WORD_1 src1_sel:DWORD
	v_lshrrev_b32_e32 v99, 16, v27
	v_lshrrev_b32_e32 v112, 16, v25
	v_fma_f16 v181, v35, v100, -v1
	v_mul_f16_sdwa v1, v50, v89 dst_sel:DWORD dst_unused:UNUSED_PAD src0_sel:WORD_1 src1_sel:DWORD
	s_waitcnt lgkmcnt(8)
	v_lshrrev_b32_e32 v116, 16, v91
	s_waitcnt lgkmcnt(7)
	v_lshrrev_b32_e32 v118, 16, v93
	v_mul_f16_sdwa v183, v51, v114 dst_sel:DWORD dst_unused:UNUSED_PAD src0_sel:WORD_1 src1_sel:DWORD
	v_mul_f16_sdwa v184, v64, v115 dst_sel:DWORD dst_unused:UNUSED_PAD src0_sel:WORD_1 src1_sel:DWORD
	v_fma_f16 v113, v50, v113, -v1
	v_mul_f16_sdwa v1, v64, v31 dst_sel:DWORD dst_unused:UNUSED_PAD src0_sel:WORD_1 src1_sel:DWORD
	v_fma_f16 v114, v51, v114, -v24
	v_mul_f16_sdwa v24, v65, v91 dst_sel:DWORD dst_unused:UNUSED_PAD src0_sel:WORD_1 src1_sel:DWORD
	s_waitcnt lgkmcnt(6)
	v_lshrrev_b32_e32 v119, 16, v95
	v_lshrrev_b32_e32 v121, 16, v92
	v_fma_f16 v115, v64, v115, -v1
	v_mul_f16_sdwa v1, v67, v93 dst_sel:DWORD dst_unused:UNUSED_PAD src0_sel:WORD_1 src1_sel:DWORD
	s_waitcnt lgkmcnt(5)
	v_lshrrev_b32_e32 v122, 16, v101
	v_fma_f16 v134, v32, v97, -v134
	v_mul_f16_sdwa v176, v34, v99 dst_sel:DWORD dst_unused:UNUSED_PAD src0_sel:WORD_1 src1_sel:DWORD
	v_mul_f16_sdwa v32, v34, v27 dst_sel:DWORD dst_unused:UNUSED_PAD src0_sel:WORD_1 src1_sel:DWORD
	;; [unrolled: 1-line block ×4, first 2 shown]
	v_fma_f16 v116, v65, v116, -v24
	v_mul_f16_sdwa v187, v67, v118 dst_sel:DWORD dst_unused:UNUSED_PAD src0_sel:WORD_1 src1_sel:DWORD
	v_mul_f16_sdwa v24, v60, v95 dst_sel:DWORD dst_unused:UNUSED_PAD src0_sel:WORD_1 src1_sel:DWORD
	v_fma_f16 v118, v67, v118, -v1
	v_mul_f16_sdwa v1, v61, v92 dst_sel:DWORD dst_unused:UNUSED_PAD src0_sel:WORD_1 src1_sel:DWORD
	v_lshrrev_b32_e32 v117, 16, v90
	v_lshrrev_b32_e32 v124, 16, v96
	v_mul_f16_sdwa v177, v35, v100 dst_sel:DWORD dst_unused:UNUSED_PAD src0_sel:WORD_1 src1_sel:DWORD
	v_fmac_f16_e32 v176, v34, v27
	v_fma_f16 v178, v34, v99, -v32
	v_mul_f16_sdwa v27, v49, v25 dst_sel:DWORD dst_unused:UNUSED_PAD src0_sel:WORD_1 src1_sel:DWORD
	v_fmac_f16_e32 v180, v49, v25
	v_mul_f16_sdwa v25, v66, v90 dst_sel:DWORD dst_unused:UNUSED_PAD src0_sel:WORD_1 src1_sel:DWORD
	v_mul_f16_sdwa v188, v60, v119 dst_sel:DWORD dst_unused:UNUSED_PAD src0_sel:WORD_1 src1_sel:DWORD
	;; [unrolled: 1-line block ×3, first 2 shown]
	v_fma_f16 v97, v60, v119, -v24
	v_mul_f16_sdwa v119, v62, v122 dst_sel:DWORD dst_unused:UNUSED_PAD src0_sel:WORD_1 src1_sel:DWORD
	v_mul_f16_sdwa v24, v62, v101 dst_sel:DWORD dst_unused:UNUSED_PAD src0_sel:WORD_1 src1_sel:DWORD
	v_fma_f16 v100, v61, v121, -v1
	v_mul_f16_sdwa v1, v56, v96 dst_sel:DWORD dst_unused:UNUSED_PAD src0_sel:WORD_1 src1_sel:DWORD
	v_lshrrev_b32_e32 v123, 16, v94
	s_waitcnt lgkmcnt(2)
	v_lshrrev_b32_e32 v125, 16, v103
	v_lshrrev_b32_e32 v126, 16, v102
	;; [unrolled: 1-line block ×3, first 2 shown]
	v_mul_f16_sdwa v186, v66, v117 dst_sel:DWORD dst_unused:UNUSED_PAD src0_sel:WORD_1 src1_sel:DWORD
	v_fmac_f16_e32 v185, v65, v91
	v_fma_f16 v117, v66, v117, -v25
	v_fmac_f16_e32 v99, v61, v92
	v_mul_f16_sdwa v25, v63, v94 dst_sel:DWORD dst_unused:UNUSED_PAD src0_sel:WORD_1 src1_sel:DWORD
	v_fmac_f16_e32 v119, v62, v101
	v_fma_f16 v101, v62, v122, -v24
	v_mul_f16_sdwa v91, v56, v124 dst_sel:DWORD dst_unused:UNUSED_PAD src0_sel:WORD_1 src1_sel:DWORD
	v_mul_f16_sdwa v24, v57, v103 dst_sel:DWORD dst_unused:UNUSED_PAD src0_sel:WORD_1 src1_sel:DWORD
	v_fma_f16 v61, v56, v124, -v1
	v_mul_f16_sdwa v1, v58, v102 dst_sel:DWORD dst_unused:UNUSED_PAD src0_sel:WORD_1 src1_sel:DWORD
	s_waitcnt lgkmcnt(1)
	v_lshrrev_b32_e32 v127, 16, v105
	v_lshrrev_b32_e32 v129, 16, v104
	;; [unrolled: 1-line block ×4, first 2 shown]
	v_fmac_f16_e32 v187, v67, v93
	v_fma_f16 v121, v63, v123, -v25
	v_fmac_f16_e32 v91, v56, v96
	v_fma_f16 v62, v57, v125, -v24
	v_mul_f16_sdwa v24, v59, v105 dst_sel:DWORD dst_unused:UNUSED_PAD src0_sel:WORD_1 src1_sel:DWORD
	v_mul_f16_sdwa v56, v52, v128 dst_sel:DWORD dst_unused:UNUSED_PAD src0_sel:WORD_1 src1_sel:DWORD
	;; [unrolled: 1-line block ×3, first 2 shown]
	v_fma_f16 v67, v58, v126, -v1
	v_mul_f16_sdwa v1, v53, v104 dst_sel:DWORD dst_unused:UNUSED_PAD src0_sel:WORD_1 src1_sel:DWORD
	v_lshrrev_b32_e32 v131, 16, v106
	v_lshrrev_b32_e32 v132, 16, v108
	;; [unrolled: 1-line block ×3, first 2 shown]
	v_fmac_f16_e32 v179, v48, v30
	v_fma_f16 v112, v49, v112, -v27
	v_fmac_f16_e32 v182, v50, v89
	v_mul_f16_sdwa v189, v63, v123 dst_sel:DWORD dst_unused:UNUSED_PAD src0_sel:WORD_1 src1_sel:DWORD
	v_fma_f16 v89, v59, v127, -v24
	v_fmac_f16_e32 v56, v52, v107
	v_fma_f16 v48, v52, v128, -v25
	v_mul_f16_sdwa v52, v54, v130 dst_sel:DWORD dst_unused:UNUSED_PAD src0_sel:WORD_1 src1_sel:DWORD
	v_mul_f16_sdwa v24, v54, v109 dst_sel:DWORD dst_unused:UNUSED_PAD src0_sel:WORD_1 src1_sel:DWORD
	v_fma_f16 v49, v53, v129, -v1
	v_mul_f16_sdwa v1, v55, v106 dst_sel:DWORD dst_unused:UNUSED_PAD src0_sel:WORD_1 src1_sel:DWORD
	v_mul_f16_sdwa v27, v45, v135 dst_sel:DWORD dst_unused:UNUSED_PAD src0_sel:WORD_1 src1_sel:DWORD
	s_waitcnt lgkmcnt(0)
	v_lshrrev_b32_e32 v137, 16, v120
	v_fmac_f16_e32 v177, v35, v28
	v_fmac_f16_e32 v183, v51, v29
	;; [unrolled: 1-line block ×3, first 2 shown]
	v_mul_f16_sdwa v63, v57, v125 dst_sel:DWORD dst_unused:UNUSED_PAD src0_sel:WORD_1 src1_sel:DWORD
	v_fmac_f16_e32 v52, v54, v109
	v_fma_f16 v51, v54, v130, -v24
	v_mul_f16_sdwa v28, v44, v132 dst_sel:DWORD dst_unused:UNUSED_PAD src0_sel:WORD_1 src1_sel:DWORD
	v_mul_f16_sdwa v24, v44, v108 dst_sel:DWORD dst_unused:UNUSED_PAD src0_sel:WORD_1 src1_sel:DWORD
	;; [unrolled: 1-line block ×3, first 2 shown]
	v_fma_f16 v54, v55, v131, -v1
	v_fmac_f16_e32 v27, v45, v26
	v_add_f16_e32 v1, v138, v176
	v_mul_f16_sdwa v32, v46, v136 dst_sel:DWORD dst_unused:UNUSED_PAD src0_sel:WORD_1 src1_sel:DWORD
	v_mul_f16_sdwa v26, v46, v110 dst_sel:DWORD dst_unused:UNUSED_PAD src0_sel:WORD_1 src1_sel:DWORD
	v_add_f16_e32 v30, v4, v133
	v_fmac_f16_e32 v184, v64, v31
	v_fmac_f16_e32 v63, v57, v103
	v_mul_f16_sdwa v50, v53, v129 dst_sel:DWORD dst_unused:UNUSED_PAD src0_sel:WORD_1 src1_sel:DWORD
	v_mul_f16_sdwa v57, v55, v131 dst_sel:DWORD dst_unused:UNUSED_PAD src0_sel:WORD_1 src1_sel:DWORD
	v_fmac_f16_e32 v28, v44, v108
	v_fma_f16 v24, v44, v132, -v24
	v_fma_f16 v25, v45, v135, -v25
	v_mul_f16_sdwa v35, v47, v137 dst_sel:DWORD dst_unused:UNUSED_PAD src0_sel:WORD_1 src1_sel:DWORD
	v_fma_f16 v1, -0.5, v1, v4
	v_sub_f16_e32 v44, v134, v181
	v_fmac_f16_e32 v32, v46, v110
	v_fma_f16 v29, v46, v136, -v26
	v_add_f16_e32 v30, v30, v138
	v_sub_f16_e32 v31, v133, v138
	v_sub_f16_e32 v33, v177, v176
	v_add_f16_e32 v45, v133, v177
	v_mul_f16_sdwa v46, v47, v120 dst_sel:DWORD dst_unused:UNUSED_PAD src0_sel:WORD_1 src1_sel:DWORD
	v_mul_f16_sdwa v65, v58, v126 dst_sel:DWORD dst_unused:UNUSED_PAD src0_sel:WORD_1 src1_sel:DWORD
	;; [unrolled: 1-line block ×3, first 2 shown]
	v_fmac_f16_e32 v50, v53, v104
	v_fmac_f16_e32 v57, v55, v106
	;; [unrolled: 1-line block ×3, first 2 shown]
	v_fmamk_f16 v26, v44, 0xbb9c, v1
	v_sub_f16_e32 v34, v98, v178
	v_add_f16_e32 v30, v30, v176
	v_add_f16_e32 v53, v31, v33
	v_fma_f16 v4, -0.5, v45, v4
	v_fma_f16 v33, v47, v137, -v46
	v_fmac_f16_e32 v1, 0x3b9c, v44
	v_sub_f16_e32 v45, v138, v133
	v_sub_f16_e32 v46, v176, v177
	v_add_f16_e32 v47, v9, v134
	v_add_f16_e32 v55, v98, v178
	v_fmac_f16_e32 v65, v58, v102
	v_fmac_f16_e32 v93, v59, v105
	;; [unrolled: 1-line block ×3, first 2 shown]
	v_add_f16_e32 v31, v30, v177
	v_fmamk_f16 v30, v34, 0x3b9c, v4
	v_fmac_f16_e32 v1, 0x38b4, v34
	v_add_f16_e32 v45, v45, v46
	v_fmac_f16_e32 v4, 0xbb9c, v34
	v_add_f16_e32 v46, v47, v98
	v_fma_f16 v34, -0.5, v55, v9
	v_sub_f16_e32 v55, v133, v177
	v_add_f16_e32 v47, v134, v181
	v_sub_f16_e32 v58, v134, v98
	v_sub_f16_e32 v59, v181, v178
	v_fmac_f16_e32 v188, v60, v95
	v_fmac_f16_e32 v26, 0x34f2, v53
	;; [unrolled: 1-line block ×5, first 2 shown]
	v_fmamk_f16 v44, v55, 0x3b9c, v34
	v_sub_f16_e32 v53, v138, v176
	v_fmac_f16_e32 v9, -0.5, v47
	v_add_f16_e32 v58, v58, v59
	v_fmac_f16_e32 v34, 0xbb9c, v55
	v_sub_f16_e32 v47, v98, v134
	v_sub_f16_e32 v59, v178, v181
	v_add_f16_e32 v60, v180, v182
	v_fmac_f16_e32 v30, 0x34f2, v45
	v_fmac_f16_e32 v4, 0x34f2, v45
	;; [unrolled: 1-line block ×3, first 2 shown]
	v_fmamk_f16 v45, v53, 0xbb9c, v9
	v_fmac_f16_e32 v34, 0xb8b4, v53
	v_add_f16_e32 v59, v47, v59
	v_add_f16_e32 v64, v5, v179
	v_fma_f16 v47, -0.5, v60, v5
	v_sub_f16_e32 v60, v111, v114
	v_fmac_f16_e32 v9, 0x3b9c, v53
	v_add_f16_e32 v92, v179, v183
	v_lshrrev_b32_e32 v8, 16, v5
	v_fmac_f16_e32 v186, v66, v90
	v_fmac_f16_e32 v44, 0x34f2, v58
	;; [unrolled: 1-line block ×4, first 2 shown]
	v_add_f16_e32 v58, v64, v180
	v_fmamk_f16 v53, v60, 0xbb9c, v47
	v_sub_f16_e32 v64, v112, v113
	v_sub_f16_e32 v66, v179, v180
	;; [unrolled: 1-line block ×3, first 2 shown]
	v_fmac_f16_e32 v9, 0xb8b4, v55
	v_fmac_f16_e32 v5, -0.5, v92
	v_fmac_f16_e32 v47, 0x3b9c, v60
	v_fmac_f16_e32 v45, 0x34f2, v59
	v_add_f16_e32 v55, v58, v182
	v_fmac_f16_e32 v53, 0xb8b4, v64
	v_add_f16_e32 v66, v66, v90
	v_fmac_f16_e32 v9, 0x34f2, v59
	v_fmamk_f16 v58, v64, 0x3b9c, v5
	v_sub_f16_e32 v59, v180, v179
	v_sub_f16_e32 v90, v182, v183
	v_fmac_f16_e32 v47, 0x38b4, v64
	v_add_f16_e32 v94, v112, v113
	v_fmac_f16_e32 v5, 0xbb9c, v64
	v_fmac_f16_e32 v53, 0x34f2, v66
	v_add_f16_e32 v92, v8, v111
	v_fmac_f16_e32 v58, 0xb8b4, v60
	v_add_f16_e32 v90, v59, v90
	v_fma_f16 v59, -0.5, v94, v8
	v_sub_f16_e32 v94, v179, v183
	v_fmac_f16_e32 v47, 0x34f2, v66
	v_fmac_f16_e32 v5, 0x38b4, v60
	v_add_f16_e32 v66, v111, v114
	v_sub_f16_e32 v95, v111, v112
	v_sub_f16_e32 v96, v114, v113
	v_add_f16_e32 v64, v92, v112
	v_fmac_f16_e32 v58, 0x34f2, v90
	v_fmamk_f16 v60, v94, 0x3b9c, v59
	v_sub_f16_e32 v92, v180, v182
	v_fmac_f16_e32 v5, 0x34f2, v90
	v_fmac_f16_e32 v8, -0.5, v66
	v_add_f16_e32 v95, v95, v96
	v_fmac_f16_e32 v59, 0xbb9c, v94
	v_sub_f16_e32 v90, v112, v111
	v_sub_f16_e32 v96, v113, v114
	v_add_f16_e32 v98, v185, v186
	v_fmac_f16_e32 v60, 0x38b4, v92
	v_fmamk_f16 v66, v92, 0xbb9c, v8
	v_fmac_f16_e32 v59, 0xb8b4, v92
	v_add_f16_e32 v96, v90, v96
	v_add_f16_e32 v102, v2, v184
	v_fma_f16 v90, -0.5, v98, v2
	v_sub_f16_e32 v98, v115, v118
	v_fmac_f16_e32 v8, 0x3b9c, v92
	v_lshrrev_b32_e32 v23, 16, v2
	v_fmac_f16_e32 v60, 0x34f2, v95
	v_fmac_f16_e32 v66, 0x38b4, v94
	;; [unrolled: 1-line block ×3, first 2 shown]
	v_add_f16_e32 v95, v102, v185
	v_fmamk_f16 v92, v98, 0xbb9c, v90
	v_sub_f16_e32 v102, v116, v117
	v_sub_f16_e32 v103, v184, v185
	;; [unrolled: 1-line block ×3, first 2 shown]
	v_add_f16_e32 v105, v184, v187
	v_fmac_f16_e32 v8, 0xb8b4, v94
	v_fmac_f16_e32 v90, 0x3b9c, v98
	;; [unrolled: 1-line block ×4, first 2 shown]
	v_add_f16_e32 v103, v103, v104
	v_fma_f16 v2, -0.5, v105, v2
	v_fmac_f16_e32 v8, 0x34f2, v96
	v_sub_f16_e32 v96, v185, v184
	v_sub_f16_e32 v104, v186, v187
	v_fmac_f16_e32 v90, 0x38b4, v102
	v_add_f16_e32 v105, v23, v115
	v_add_f16_e32 v106, v116, v117
	;; [unrolled: 1-line block ×3, first 2 shown]
	v_fmac_f16_e32 v92, 0x34f2, v103
	v_fmamk_f16 v95, v102, 0x3b9c, v2
	v_add_f16_e32 v104, v96, v104
	v_fmac_f16_e32 v2, 0xbb9c, v102
	v_add_f16_e32 v102, v105, v116
	v_fma_f16 v96, -0.5, v106, v23
	v_sub_f16_e32 v105, v184, v187
	v_fmac_f16_e32 v90, 0x34f2, v103
	v_add_f16_e32 v103, v115, v118
	v_sub_f16_e32 v107, v115, v116
	v_sub_f16_e32 v108, v118, v117
	v_add_nc_u32_e32 v11, 0x200, v139
	v_fmac_f16_e32 v95, 0xb8b4, v98
	v_fmac_f16_e32 v2, 0x38b4, v98
	v_fmamk_f16 v98, v105, 0x3b9c, v96
	v_sub_f16_e32 v106, v185, v186
	v_fmac_f16_e32 v23, -0.5, v103
	v_add_f16_e32 v103, v107, v108
	v_fmac_f16_e32 v96, 0xbb9c, v105
	v_sub_f16_e32 v107, v116, v115
	v_sub_f16_e32 v108, v117, v118
	v_add_f16_e32 v109, v99, v119
	ds_read2_b32 v[6:7], v11 offset0:92 offset1:147
	v_lshrrev_b32_e32 v21, 16, v3
	v_add_f16_e32 v64, v64, v113
	v_fmac_f16_e32 v95, 0x34f2, v104
	v_fmac_f16_e32 v2, 0x34f2, v104
	;; [unrolled: 1-line block ×3, first 2 shown]
	v_fmamk_f16 v104, v106, 0xbb9c, v23
	v_fmac_f16_e32 v96, 0xb8b4, v106
	v_add_f16_e32 v107, v107, v108
	v_add_f16_e32 v108, v3, v188
	v_fma_f16 v109, -0.5, v109, v3
	v_sub_f16_e32 v110, v97, v121
	v_fmac_f16_e32 v23, 0x3b9c, v106
	v_sub_f16_e32 v111, v188, v99
	v_sub_f16_e32 v112, v189, v119
	v_add_f16_e32 v113, v188, v189
	v_add_f16_e32 v64, v64, v114
	v_fmac_f16_e32 v98, 0x34f2, v103
	v_fmac_f16_e32 v104, 0x38b4, v105
	v_fmac_f16_e32 v96, 0x34f2, v103
	v_add_f16_e32 v103, v108, v99
	v_fmamk_f16 v106, v110, 0xbb9c, v109
	v_sub_f16_e32 v108, v100, v101
	v_fmac_f16_e32 v23, 0xb8b4, v105
	v_add_f16_e32 v105, v111, v112
	v_fmac_f16_e32 v3, -0.5, v113
	v_fmac_f16_e32 v109, 0x3b9c, v110
	v_sub_f16_e32 v111, v99, v188
	v_sub_f16_e32 v112, v119, v189
	v_add_f16_e32 v113, v21, v97
	v_add_f16_e32 v114, v100, v101
	v_fmac_f16_e32 v104, 0x34f2, v107
	v_fmac_f16_e32 v106, 0xb8b4, v108
	;; [unrolled: 1-line block ×3, first 2 shown]
	v_fmamk_f16 v107, v108, 0x3b9c, v3
	v_fmac_f16_e32 v109, 0x38b4, v108
	v_add_f16_e32 v111, v111, v112
	v_fmac_f16_e32 v3, 0xbb9c, v108
	v_add_f16_e32 v108, v113, v100
	v_fma_f16 v112, -0.5, v114, v21
	v_sub_f16_e32 v113, v188, v189
	v_fmac_f16_e32 v106, 0x34f2, v105
	v_fmac_f16_e32 v107, 0xb8b4, v110
	;; [unrolled: 1-line block ×4, first 2 shown]
	v_add_f16_e32 v105, v108, v101
	v_fmamk_f16 v108, v113, 0x3b9c, v112
	v_add_f16_e32 v110, v97, v121
	v_sub_f16_e32 v99, v99, v119
	v_sub_f16_e32 v114, v97, v100
	;; [unrolled: 1-line block ×3, first 2 shown]
	v_fmac_f16_e32 v112, 0xbb9c, v113
	v_sub_f16_e32 v97, v100, v97
	v_sub_f16_e32 v100, v101, v121
	v_add_f16_e32 v101, v63, v65
	v_fmac_f16_e32 v21, -0.5, v110
	v_fmac_f16_e32 v108, 0x38b4, v99
	v_add_f16_e32 v110, v114, v115
	v_fmac_f16_e32 v112, 0xb8b4, v99
	v_add_f16_e32 v97, v97, v100
	s_waitcnt lgkmcnt(0)
	v_add_f16_e32 v100, v6, v91
	v_fma_f16 v101, -0.5, v101, v6
	v_sub_f16_e32 v114, v61, v89
	v_lshrrev_b32_e32 v22, 16, v6
	v_add_f16_e32 v102, v102, v117
	v_fmac_f16_e32 v107, 0x34f2, v111
	v_fmac_f16_e32 v3, 0x34f2, v111
	v_fmamk_f16 v111, v99, 0xbb9c, v21
	v_fmac_f16_e32 v108, 0x34f2, v110
	v_fmac_f16_e32 v112, 0x34f2, v110
	;; [unrolled: 1-line block ×3, first 2 shown]
	v_add_f16_e32 v99, v100, v63
	v_fmamk_f16 v100, v114, 0xbb9c, v101
	v_sub_f16_e32 v110, v62, v67
	v_sub_f16_e32 v115, v91, v63
	;; [unrolled: 1-line block ×3, first 2 shown]
	v_add_f16_e32 v117, v91, v93
	v_fmac_f16_e32 v101, 0x3b9c, v114
	v_add_f16_e32 v102, v102, v118
	v_fmac_f16_e32 v111, 0x38b4, v113
	v_fmac_f16_e32 v21, 0xb8b4, v113
	v_add_f16_e32 v99, v99, v65
	v_fmac_f16_e32 v100, 0xb8b4, v110
	v_add_f16_e32 v113, v115, v116
	v_fma_f16 v6, -0.5, v117, v6
	v_sub_f16_e32 v115, v63, v91
	v_sub_f16_e32 v116, v65, v93
	v_fmac_f16_e32 v101, 0x38b4, v110
	v_add_f16_e32 v117, v22, v61
	v_add_f16_e32 v118, v62, v67
	v_fmac_f16_e32 v111, 0x34f2, v97
	v_fmac_f16_e32 v21, 0x34f2, v97
	v_add_f16_e32 v97, v99, v93
	v_fmac_f16_e32 v100, 0x34f2, v113
	v_fmamk_f16 v99, v110, 0x3b9c, v6
	v_add_f16_e32 v115, v115, v116
	v_fmac_f16_e32 v6, 0xbb9c, v110
	v_add_f16_e32 v110, v117, v62
	v_fma_f16 v116, -0.5, v118, v22
	v_sub_f16_e32 v91, v91, v93
	v_fmac_f16_e32 v101, 0x34f2, v113
	v_add_f16_e32 v113, v61, v89
	v_sub_f16_e32 v63, v63, v65
	v_sub_f16_e32 v65, v61, v62
	;; [unrolled: 1-line block ×4, first 2 shown]
	v_fmac_f16_e32 v99, 0xb8b4, v114
	v_fmac_f16_e32 v6, 0x38b4, v114
	v_add_f16_e32 v93, v110, v67
	v_fmamk_f16 v110, v91, 0x3b9c, v116
	v_sub_f16_e32 v114, v89, v67
	v_fmac_f16_e32 v22, -0.5, v113
	v_fmac_f16_e32 v116, 0xbb9c, v91
	v_add_f16_e32 v61, v61, v62
	v_add_f16_e32 v62, v7, v56
	v_fmac_f16_e32 v110, 0x38b4, v63
	v_add_f16_e32 v65, v65, v114
	v_fmamk_f16 v113, v63, 0xbb9c, v22
	v_add_f16_e32 v67, v50, v52
	v_fmac_f16_e32 v116, 0xb8b4, v63
	v_fmac_f16_e32 v22, 0x3b9c, v63
	v_add_f16_e32 v62, v62, v50
	v_add_f16_e32 v117, v56, v57
	v_lshrrev_b32_e32 v20, 16, v7
	v_fmac_f16_e32 v99, 0x34f2, v115
	v_fmac_f16_e32 v6, 0x34f2, v115
	v_add_f16_e32 v93, v93, v89
	v_fmac_f16_e32 v110, 0x34f2, v65
	v_fmac_f16_e32 v113, 0x38b4, v91
	v_fma_f16 v67, -0.5, v67, v7
	v_sub_f16_e32 v89, v48, v54
	v_fmac_f16_e32 v116, 0x34f2, v65
	v_sub_f16_e32 v65, v49, v51
	v_sub_f16_e32 v114, v56, v50
	;; [unrolled: 1-line block ×3, first 2 shown]
	v_fmac_f16_e32 v22, 0xb8b4, v91
	v_add_f16_e32 v62, v62, v52
	v_fmac_f16_e32 v7, -0.5, v117
	v_fmac_f16_e32 v113, 0x34f2, v61
	v_fmamk_f16 v63, v89, 0xbb9c, v67
	v_add_f16_e32 v91, v114, v115
	v_fmac_f16_e32 v22, 0x34f2, v61
	v_add_f16_e32 v61, v62, v57
	v_fmac_f16_e32 v67, 0x3b9c, v89
	v_fmamk_f16 v62, v65, 0x3b9c, v7
	v_sub_f16_e32 v114, v50, v56
	v_sub_f16_e32 v115, v52, v57
	v_add_f16_e32 v117, v20, v48
	v_add_f16_e32 v118, v49, v51
	v_fmac_f16_e32 v7, 0xbb9c, v65
	v_fmac_f16_e32 v63, 0xb8b4, v65
	;; [unrolled: 1-line block ×4, first 2 shown]
	v_add_f16_e32 v114, v114, v115
	v_add_f16_e32 v65, v117, v49
	v_fma_f16 v115, -0.5, v118, v20
	v_sub_f16_e32 v56, v56, v57
	v_fmac_f16_e32 v7, 0x38b4, v89
	v_add_f16_e32 v89, v48, v54
	v_fmac_f16_e32 v63, 0x34f2, v91
	v_fmac_f16_e32 v67, 0x34f2, v91
	v_add_f16_e32 v57, v65, v51
	v_fmamk_f16 v65, v56, 0x3b9c, v115
	v_sub_f16_e32 v50, v50, v52
	v_sub_f16_e32 v52, v48, v49
	v_sub_f16_e32 v91, v54, v51
	v_fmac_f16_e32 v20, -0.5, v89
	v_fmac_f16_e32 v115, 0xbb9c, v56
	v_sub_f16_e32 v48, v49, v48
	v_sub_f16_e32 v49, v51, v54
	v_add_f16_e32 v51, v27, v32
	v_fmac_f16_e32 v65, 0x38b4, v50
	v_add_f16_e32 v52, v52, v91
	v_fmamk_f16 v89, v50, 0xbb9c, v20
	v_fmac_f16_e32 v115, 0xb8b4, v50
	v_add_f16_e32 v48, v48, v49
	v_fmac_f16_e32 v20, 0x3b9c, v50
	v_add_f16_e32 v49, v0, v28
	v_fma_f16 v50, -0.5, v51, v0
	v_sub_f16_e32 v51, v24, v33
	v_fmac_f16_e32 v62, 0x34f2, v114
	v_fmac_f16_e32 v7, 0x34f2, v114
	v_add_f16_e32 v57, v57, v54
	v_fmac_f16_e32 v65, 0x34f2, v52
	v_fmac_f16_e32 v89, 0x38b4, v56
	;; [unrolled: 1-line block ×4, first 2 shown]
	v_add_f16_e32 v49, v49, v27
	v_fmamk_f16 v52, v51, 0xbb9c, v50
	v_sub_f16_e32 v54, v25, v29
	v_sub_f16_e32 v56, v28, v27
	;; [unrolled: 1-line block ×3, first 2 shown]
	v_fmac_f16_e32 v50, 0x3b9c, v51
	v_add_f16_e32 v114, v28, v35
	v_lshrrev_b32_e32 v12, 16, v0
	v_add_f16_e32 v49, v49, v32
	v_fmac_f16_e32 v52, 0xb8b4, v54
	v_add_f16_e32 v56, v56, v91
	v_fmac_f16_e32 v50, 0x38b4, v54
	v_fmac_f16_e32 v0, -0.5, v114
	v_sub_f16_e32 v91, v27, v28
	v_sub_f16_e32 v114, v32, v35
	v_fmac_f16_e32 v89, 0x34f2, v48
	v_fmac_f16_e32 v20, 0x34f2, v48
	v_add_f16_e32 v48, v49, v35
	v_fmac_f16_e32 v52, 0x34f2, v56
	v_fmac_f16_e32 v50, 0x34f2, v56
	v_fmamk_f16 v49, v54, 0x3b9c, v0
	v_add_f16_e32 v56, v25, v29
	v_fmac_f16_e32 v0, 0xbb9c, v54
	v_sub_f16_e32 v28, v28, v35
	v_add_f16_e32 v35, v91, v114
	v_add_f16_e32 v91, v24, v33
	v_add_f16_e32 v54, v12, v24
	v_fma_f16 v56, -0.5, v56, v12
	v_fmac_f16_e32 v49, 0xb8b4, v51
	v_fmac_f16_e32 v0, 0x38b4, v51
	v_sub_f16_e32 v27, v27, v32
	v_fmac_f16_e32 v12, -0.5, v91
	v_add_f16_e32 v46, v46, v178
	v_add_f16_e32 v51, v54, v25
	v_fmac_f16_e32 v49, 0x34f2, v35
	v_fmac_f16_e32 v0, 0x34f2, v35
	v_sub_f16_e32 v35, v24, v25
	v_fmamk_f16 v91, v27, 0xbb9c, v12
	v_sub_f16_e32 v24, v25, v24
	v_sub_f16_e32 v25, v29, v33
	v_fmac_f16_e32 v12, 0x3b9c, v27
	v_add_f16_e32 v46, v46, v181
	v_fmamk_f16 v54, v28, 0x3b9c, v56
	v_fmac_f16_e32 v56, 0xbb9c, v28
	v_fmac_f16_e32 v91, 0x38b4, v28
	v_add_f16_e32 v24, v24, v25
	v_fmac_f16_e32 v12, 0xb8b4, v28
	v_add_f16_e32 v55, v55, v183
	v_fmac_f16_e32 v54, 0x38b4, v27
	v_fmac_f16_e32 v56, 0xb8b4, v27
	v_pack_b32_f16 v27, v31, v46
	v_pack_b32_f16 v26, v26, v44
	v_add_f16_e32 v103, v103, v119
	v_add_f16_e32 v94, v94, v187
	v_fmac_f16_e32 v91, 0x34f2, v24
	v_fmac_f16_e32 v12, 0x34f2, v24
	v_pack_b32_f16 v24, v30, v45
	v_pack_b32_f16 v4, v4, v9
	;; [unrolled: 1-line block ×3, first 2 shown]
	v_add_f16_e32 v32, v51, v29
	v_sub_f16_e32 v51, v33, v29
	s_barrier
	buffer_gl0_inv
	ds_write2_b32 v139, v27, v26 offset1:77
	v_pack_b32_f16 v9, v55, v64
	v_pack_b32_f16 v26, v53, v60
	v_add_f16_e32 v103, v103, v189
	v_add_f16_e32 v105, v105, v121
	v_pack_b32_f16 v27, v58, v66
	v_pack_b32_f16 v5, v5, v8
	;; [unrolled: 1-line block ×3, first 2 shown]
	ds_write2_b32 v139, v24, v4 offset0:154 offset1:231
	ds_write_b32 v139, v1 offset:1232
	ds_write2_b32 v191, v9, v26 offset1:77
	ds_write2_b32 v191, v27, v5 offset0:154 offset1:231
	ds_write_b32 v191, v8 offset:1232
	v_pack_b32_f16 v1, v94, v102
	v_pack_b32_f16 v4, v92, v98
	;; [unrolled: 1-line block ×4, first 2 shown]
	v_add_f16_e32 v29, v35, v51
	v_pack_b32_f16 v8, v90, v96
	v_pack_b32_f16 v9, v103, v105
	;; [unrolled: 1-line block ×3, first 2 shown]
	v_add_nc_u32_e32 v24, 0xc00, v193
	v_pack_b32_f16 v26, v107, v111
	v_pack_b32_f16 v3, v3, v21
	ds_write2_b32 v192, v1, v4 offset1:77
	ds_write2_b32 v192, v5, v2 offset0:154 offset1:231
	ds_write_b32 v192, v8 offset:1232
	ds_write2_b32 v24, v9, v23 offset0:2 offset1:79
	ds_write2_b32 v24, v26, v3 offset0:156 offset1:233
	v_pack_b32_f16 v1, v109, v112
	v_pack_b32_f16 v2, v97, v93
	;; [unrolled: 1-line block ×3, first 2 shown]
	v_add_f16_e32 v25, v32, v33
	v_fmac_f16_e32 v54, 0x34f2, v29
	v_pack_b32_f16 v4, v99, v113
	v_pack_b32_f16 v5, v6, v22
	;; [unrolled: 1-line block ×3, first 2 shown]
	v_fmac_f16_e32 v56, 0x34f2, v29
	v_pack_b32_f16 v8, v61, v57
	v_pack_b32_f16 v9, v63, v65
	ds_write_b32 v193, v1 offset:4312
	ds_write2_b32 v194, v2, v3 offset1:77
	ds_write2_b32 v194, v4, v5 offset0:154 offset1:231
	ds_write_b32 v194, v6 offset:1232
	ds_write2_b32 v195, v8, v9 offset1:77
	v_pack_b32_f16 v1, v62, v89
	v_pack_b32_f16 v2, v7, v20
	;; [unrolled: 1-line block ×5, first 2 shown]
	v_add_nc_u32_e32 v6, 0x1800, v196
	v_pack_b32_f16 v7, v49, v91
	v_pack_b32_f16 v0, v0, v12
	;; [unrolled: 1-line block ×3, first 2 shown]
	ds_write2_b32 v195, v1, v2 offset0:154 offset1:231
	ds_write_b32 v195, v3 offset:1232
	ds_write2_b32 v6, v4, v5 offset0:4 offset1:81
	ds_write2_b32 v6, v7, v0 offset0:158 offset1:235
	ds_write_b32 v196, v8 offset:7392
	s_waitcnt lgkmcnt(0)
	s_barrier
	buffer_gl0_inv
	ds_read2_b32 v[2:3], v139 offset1:55
	ds_read2_b32 v[0:1], v15 offset0:74 offset1:129
	ds_read2_b32 v[24:25], v19 offset0:2 offset1:57
	;; [unrolled: 1-line block ×15, first 2 shown]
	ds_read_b32 v92, v139 offset:7480
	ds_read2_b32 v[6:7], v11 offset0:92 offset1:147
	s_mov_b32 s8, 0xebc93598
	s_mov_b32 s9, 0x3f4105b7
	s_waitcnt lgkmcnt(17)
	v_lshrrev_b32_e32 v8, 16, v2
	s_waitcnt lgkmcnt(16)
	v_lshrrev_b32_e32 v26, 16, v1
	s_waitcnt lgkmcnt(15)
	v_lshrrev_b32_e32 v35, 16, v24
	v_mul_f16_sdwa v106, v36, v1 dst_sel:DWORD dst_unused:UNUSED_PAD src0_sel:WORD_1 src1_sel:DWORD
	s_waitcnt lgkmcnt(13)
	v_lshrrev_b32_e32 v53, 16, v29
	s_waitcnt lgkmcnt(12)
	v_lshrrev_b32_e32 v54, 16, v31
	v_mul_f16_sdwa v105, v36, v26 dst_sel:DWORD dst_unused:UNUSED_PAD src0_sel:WORD_1 src1_sel:DWORD
	s_waitcnt lgkmcnt(11)
	v_lshrrev_b32_e32 v56, 16, v33
	v_mul_f16_sdwa v110, v37, v35 dst_sel:DWORD dst_unused:UNUSED_PAD src0_sel:WORD_1 src1_sel:DWORD
	v_lshrrev_b32_e32 v60, 16, v32
	s_waitcnt lgkmcnt(9)
	v_lshrrev_b32_e32 v67, 16, v46
	v_fmac_f16_e32 v105, v36, v1
	v_mul_f16_sdwa v1, v37, v24 dst_sel:DWORD dst_unused:UNUSED_PAD src0_sel:WORD_1 src1_sel:DWORD
	v_fmac_f16_e32 v110, v37, v24
	v_mul_f16_sdwa v24, v40, v31 dst_sel:DWORD dst_unused:UNUSED_PAD src0_sel:WORD_1 src1_sel:DWORD
	v_lshrrev_b32_e32 v57, 16, v30
	s_waitcnt lgkmcnt(8)
	v_lshrrev_b32_e32 v93, 16, v45
	v_fma_f16 v112, v37, v35, -v1
	v_mul_f16_sdwa v1, v39, v29 dst_sel:DWORD dst_unused:UNUSED_PAD src0_sel:WORD_1 src1_sel:DWORD
	v_fma_f16 v116, v40, v54, -v24
	v_mul_f16_sdwa v24, v43, v30 dst_sel:DWORD dst_unused:UNUSED_PAD src0_sel:WORD_1 src1_sel:DWORD
	v_mul_f16_sdwa v120, v72, v60 dst_sel:DWORD dst_unused:UNUSED_PAD src0_sel:WORD_1 src1_sel:DWORD
	;; [unrolled: 1-line block ×3, first 2 shown]
	v_fma_f16 v115, v39, v53, -v1
	v_mul_f16_sdwa v1, v42, v33 dst_sel:DWORD dst_unused:UNUSED_PAD src0_sel:WORD_1 src1_sel:DWORD
	v_lshrrev_b32_e32 v52, 16, v28
	v_lshrrev_b32_e32 v61, 16, v44
	v_fma_f16 v106, v36, v26, -v106
	v_mul_f16_sdwa v26, v38, v28 dst_sel:DWORD dst_unused:UNUSED_PAD src0_sel:WORD_1 src1_sel:DWORD
	v_fma_f16 v121, v42, v56, -v1
	v_mul_f16_sdwa v1, v72, v32 dst_sel:DWORD dst_unused:UNUSED_PAD src0_sel:WORD_1 src1_sel:DWORD
	v_fma_f16 v122, v43, v57, -v24
	v_fmac_f16_e32 v120, v72, v32
	v_mul_f16_sdwa v24, v73, v44 dst_sel:DWORD dst_unused:UNUSED_PAD src0_sel:WORD_1 src1_sel:DWORD
	v_fmac_f16_e32 v127, v75, v46
	v_fma_f16 v125, v72, v60, -v1
	v_mul_f16_sdwa v1, v75, v46 dst_sel:DWORD dst_unused:UNUSED_PAD src0_sel:WORD_1 src1_sel:DWORD
	v_mul_f16_sdwa v72, v69, v93 dst_sel:DWORD dst_unused:UNUSED_PAD src0_sel:WORD_1 src1_sel:DWORD
	v_lshrrev_b32_e32 v55, 16, v25
	s_waitcnt lgkmcnt(7)
	v_lshrrev_b32_e32 v91, 16, v48
	v_lshrrev_b32_e32 v96, 16, v49
	v_fma_f16 v75, v75, v67, -v1
	v_mul_f16_sdwa v1, v69, v45 dst_sel:DWORD dst_unused:UNUSED_PAD src0_sel:WORD_1 src1_sel:DWORD
	s_waitcnt lgkmcnt(6)
	v_lshrrev_b32_e32 v97, 16, v58
	v_mul_f16_sdwa v111, v38, v52 dst_sel:DWORD dst_unused:UNUSED_PAD src0_sel:WORD_1 src1_sel:DWORD
	v_fma_f16 v52, v38, v52, -v26
	v_mul_f16_sdwa v26, v41, v25 dst_sel:DWORD dst_unused:UNUSED_PAD src0_sel:WORD_1 src1_sel:DWORD
	v_fma_f16 v126, v73, v61, -v24
	v_mul_f16_sdwa v24, v68, v48 dst_sel:DWORD dst_unused:UNUSED_PAD src0_sel:WORD_1 src1_sel:DWORD
	v_fmac_f16_e32 v72, v69, v45
	v_fma_f16 v69, v69, v93, -v1
	v_mul_f16_sdwa v1, v80, v49 dst_sel:DWORD dst_unused:UNUSED_PAD src0_sel:WORD_1 src1_sel:DWORD
	v_lshrrev_b32_e32 v64, 16, v34
	s_waitcnt lgkmcnt(5)
	v_lshrrev_b32_e32 v94, 16, v50
	v_lshrrev_b32_e32 v98, 16, v51
	v_mul_f16_sdwa v36, v39, v53 dst_sel:DWORD dst_unused:UNUSED_PAD src0_sel:WORD_1 src1_sel:DWORD
	v_mul_f16_sdwa v114, v41, v55 dst_sel:DWORD dst_unused:UNUSED_PAD src0_sel:WORD_1 src1_sel:DWORD
	v_fma_f16 v117, v41, v55, -v26
	v_mul_f16_sdwa v123, v73, v61 dst_sel:DWORD dst_unused:UNUSED_PAD src0_sel:WORD_1 src1_sel:DWORD
	v_fma_f16 v67, v68, v91, -v24
	v_mul_f16_sdwa v24, v70, v50 dst_sel:DWORD dst_unused:UNUSED_PAD src0_sel:WORD_1 src1_sel:DWORD
	v_mul_f16_sdwa v55, v81, v97 dst_sel:DWORD dst_unused:UNUSED_PAD src0_sel:WORD_1 src1_sel:DWORD
	v_fma_f16 v53, v80, v96, -v1
	v_mul_f16_sdwa v1, v82, v51 dst_sel:DWORD dst_unused:UNUSED_PAD src0_sel:WORD_1 src1_sel:DWORD
	v_lshrrev_b32_e32 v95, 16, v47
	v_lshrrev_b32_e32 v101, 16, v59
	v_mul_f16_sdwa v113, v40, v54 dst_sel:DWORD dst_unused:UNUSED_PAD src0_sel:WORD_1 src1_sel:DWORD
	v_fmac_f16_e32 v114, v41, v25
	v_mul_f16_sdwa v124, v74, v64 dst_sel:DWORD dst_unused:UNUSED_PAD src0_sel:WORD_1 src1_sel:DWORD
	v_mul_f16_sdwa v25, v74, v34 dst_sel:DWORD dst_unused:UNUSED_PAD src0_sel:WORD_1 src1_sel:DWORD
	v_fmac_f16_e32 v123, v73, v44
	v_fma_f16 v73, v70, v94, -v24
	v_mul_f16_sdwa v24, v81, v58 dst_sel:DWORD dst_unused:UNUSED_PAD src0_sel:WORD_1 src1_sel:DWORD
	v_fmac_f16_e32 v55, v81, v58
	v_fma_f16 v58, v82, v98, -v1
	v_mul_f16_sdwa v1, v77, v59 dst_sel:DWORD dst_unused:UNUSED_PAD src0_sel:WORD_1 src1_sel:DWORD
	s_waitcnt lgkmcnt(4)
	v_lshrrev_b32_e32 v103, 16, v63
	v_lshrrev_b32_e32 v107, 16, v27
	v_fmac_f16_e32 v111, v38, v28
	v_fmac_f16_e32 v113, v40, v31
	;; [unrolled: 1-line block ×3, first 2 shown]
	v_fma_f16 v74, v74, v64, -v25
	v_mul_f16_sdwa v129, v71, v95 dst_sel:DWORD dst_unused:UNUSED_PAD src0_sel:WORD_1 src1_sel:DWORD
	v_mul_f16_sdwa v25, v71, v47 dst_sel:DWORD dst_unused:UNUSED_PAD src0_sel:WORD_1 src1_sel:DWORD
	v_fma_f16 v40, v77, v101, -v1
	v_mul_f16_sdwa v1, v79, v63 dst_sel:DWORD dst_unused:UNUSED_PAD src0_sel:WORD_1 src1_sel:DWORD
	s_waitcnt lgkmcnt(3)
	v_lshrrev_b32_e32 v100, 16, v65
	v_fmac_f16_e32 v36, v39, v29
	v_mul_f16_sdwa v118, v42, v56 dst_sel:DWORD dst_unused:UNUSED_PAD src0_sel:WORD_1 src1_sel:DWORD
	v_mul_f16_sdwa v119, v43, v57 dst_sel:DWORD dst_unused:UNUSED_PAD src0_sel:WORD_1 src1_sel:DWORD
	v_fmac_f16_e32 v129, v71, v47
	v_fma_f16 v71, v71, v95, -v25
	v_mul_f16_sdwa v25, v76, v65 dst_sel:DWORD dst_unused:UNUSED_PAD src0_sel:WORD_1 src1_sel:DWORD
	v_mul_f16_sdwa v26, v85, v107 dst_sel:DWORD dst_unused:UNUSED_PAD src0_sel:WORD_1 src1_sel:DWORD
	v_fma_f16 v47, v79, v103, -v1
	v_add_f16_e32 v1, v110, v111
	s_waitcnt lgkmcnt(2)
	v_lshrrev_b32_e32 v108, 16, v90
	s_waitcnt lgkmcnt(1)
	v_lshrrev_b32_e32 v109, 16, v92
	v_fmac_f16_e32 v118, v42, v33
	v_fmac_f16_e32 v119, v43, v30
	v_mul_f16_sdwa v128, v68, v91 dst_sel:DWORD dst_unused:UNUSED_PAD src0_sel:WORD_1 src1_sel:DWORD
	v_mul_f16_sdwa v91, v70, v94 dst_sel:DWORD dst_unused:UNUSED_PAD src0_sel:WORD_1 src1_sel:DWORD
	;; [unrolled: 1-line block ×3, first 2 shown]
	v_fma_f16 v37, v76, v100, -v25
	v_mul_f16_sdwa v25, v85, v27 dst_sel:DWORD dst_unused:UNUSED_PAD src0_sel:WORD_1 src1_sel:DWORD
	v_fmac_f16_e32 v26, v85, v27
	v_mul_f16_sdwa v27, v86, v90 dst_sel:DWORD dst_unused:UNUSED_PAD src0_sel:WORD_1 src1_sel:DWORD
	v_add_f16_e32 v31, v2, v105
	v_fma_f16 v1, -0.5, v1, v2
	v_sub_f16_e32 v38, v106, v115
	v_sub_f16_e32 v32, v105, v110
	;; [unrolled: 1-line block ×3, first 2 shown]
	v_add_f16_e32 v39, v105, v36
	v_mul_f16_sdwa v43, v87, v92 dst_sel:DWORD dst_unused:UNUSED_PAD src0_sel:WORD_1 src1_sel:DWORD
	v_fmac_f16_e32 v91, v70, v50
	v_fmac_f16_e32 v61, v80, v49
	v_fma_f16 v29, v86, v108, -v27
	v_add_f16_e32 v31, v31, v110
	v_fmamk_f16 v27, v38, 0xbb9c, v1
	v_sub_f16_e32 v34, v112, v52
	v_add_f16_e32 v45, v32, v33
	v_fma_f16 v2, -0.5, v39, v2
	v_fma_f16 v33, v87, v109, -v43
	v_fmac_f16_e32 v1, 0x3b9c, v38
	v_sub_f16_e32 v39, v110, v105
	v_sub_f16_e32 v43, v111, v36
	v_add_f16_e32 v49, v8, v106
	v_add_f16_e32 v50, v112, v52
	v_mul_f16_sdwa v56, v82, v98 dst_sel:DWORD dst_unused:UNUSED_PAD src0_sel:WORD_1 src1_sel:DWORD
	v_add_f16_e32 v31, v31, v111
	v_fmac_f16_e32 v27, 0xb8b4, v34
	v_fmamk_f16 v32, v34, 0x3b9c, v2
	v_fmac_f16_e32 v1, 0x38b4, v34
	v_add_f16_e32 v39, v39, v43
	v_fmac_f16_e32 v2, 0xbb9c, v34
	v_add_f16_e32 v43, v49, v112
	v_fma_f16 v34, -0.5, v50, v8
	v_sub_f16_e32 v49, v105, v36
	v_fmac_f16_e32 v56, v82, v51
	v_add_f16_e32 v31, v31, v36
	v_fmac_f16_e32 v27, 0x34f2, v45
	v_fmac_f16_e32 v32, 0xb8b4, v38
	;; [unrolled: 1-line block ×4, first 2 shown]
	v_add_f16_e32 v38, v43, v52
	v_fmamk_f16 v36, v49, 0x3b9c, v34
	v_add_f16_e32 v43, v106, v115
	v_sub_f16_e32 v45, v110, v111
	v_sub_f16_e32 v50, v106, v112
	;; [unrolled: 1-line block ×3, first 2 shown]
	v_fmac_f16_e32 v34, 0xbb9c, v49
	v_lshrrev_b32_e32 v99, 16, v62
	v_fmac_f16_e32 v128, v68, v48
	v_mul_f16_sdwa v48, v79, v103 dst_sel:DWORD dst_unused:UNUSED_PAD src0_sel:WORD_1 src1_sel:DWORD
	v_fmac_f16_e32 v8, -0.5, v43
	v_fmac_f16_e32 v36, 0x38b4, v45
	v_add_f16_e32 v50, v50, v51
	v_sub_f16_e32 v43, v112, v106
	v_sub_f16_e32 v51, v52, v115
	v_add_f16_e32 v52, v114, v118
	v_fmac_f16_e32 v34, 0xb8b4, v45
	v_add_f16_e32 v57, v3, v113
	v_mul_f16_sdwa v64, v83, v99 dst_sel:DWORD dst_unused:UNUSED_PAD src0_sel:WORD_1 src1_sel:DWORD
	v_mul_f16_sdwa v41, v77, v101 dst_sel:DWORD dst_unused:UNUSED_PAD src0_sel:WORD_1 src1_sel:DWORD
	v_fmac_f16_e32 v48, v79, v63
	v_fmac_f16_e32 v32, 0x34f2, v39
	;; [unrolled: 1-line block ×3, first 2 shown]
	v_fmamk_f16 v39, v45, 0xbb9c, v8
	v_fmac_f16_e32 v36, 0x34f2, v50
	v_add_f16_e32 v51, v43, v51
	v_fma_f16 v43, -0.5, v52, v3
	v_sub_f16_e32 v52, v116, v122
	v_fmac_f16_e32 v34, 0x34f2, v50
	v_fmac_f16_e32 v8, 0x3b9c, v45
	v_add_f16_e32 v50, v57, v114
	v_add_f16_e32 v63, v113, v119
	v_lshrrev_b32_e32 v12, 16, v3
	v_lshrrev_b32_e32 v104, 16, v66
	v_fma_f16 v54, v81, v97, -v24
	v_mul_f16_sdwa v24, v83, v62 dst_sel:DWORD dst_unused:UNUSED_PAD src0_sel:WORD_1 src1_sel:DWORD
	v_mul_f16_sdwa v46, v76, v100 dst_sel:DWORD dst_unused:UNUSED_PAD src0_sel:WORD_1 src1_sel:DWORD
	v_fmac_f16_e32 v64, v83, v62
	v_fmac_f16_e32 v41, v77, v59
	;; [unrolled: 1-line block ×3, first 2 shown]
	v_fmamk_f16 v45, v52, 0xbb9c, v43
	v_sub_f16_e32 v57, v117, v121
	v_sub_f16_e32 v59, v113, v114
	;; [unrolled: 1-line block ×3, first 2 shown]
	v_fmac_f16_e32 v8, 0xb8b4, v49
	v_add_f16_e32 v49, v50, v118
	v_fmac_f16_e32 v3, -0.5, v63
	v_fmac_f16_e32 v43, 0x3b9c, v52
	v_lshrrev_b32_e32 v102, 16, v89
	v_fma_f16 v60, v83, v99, -v24
	v_fmac_f16_e32 v46, v76, v65
	v_mul_f16_sdwa v24, v78, v89 dst_sel:DWORD dst_unused:UNUSED_PAD src0_sel:WORD_1 src1_sel:DWORD
	v_mul_f16_sdwa v28, v84, v104 dst_sel:DWORD dst_unused:UNUSED_PAD src0_sel:WORD_1 src1_sel:DWORD
	v_fmac_f16_e32 v39, 0x34f2, v51
	v_fmac_f16_e32 v45, 0xb8b4, v57
	v_add_f16_e32 v59, v59, v62
	v_fmac_f16_e32 v8, 0x34f2, v51
	v_add_f16_e32 v50, v49, v119
	v_fmamk_f16 v49, v57, 0x3b9c, v3
	v_sub_f16_e32 v51, v114, v113
	v_sub_f16_e32 v62, v118, v119
	v_fmac_f16_e32 v43, 0x38b4, v57
	v_add_f16_e32 v63, v12, v116
	v_add_f16_e32 v65, v117, v121
	v_fmac_f16_e32 v3, 0xbb9c, v57
	v_fma_f16 v42, v78, v102, -v24
	v_mul_f16_sdwa v24, v84, v66 dst_sel:DWORD dst_unused:UNUSED_PAD src0_sel:WORD_1 src1_sel:DWORD
	v_fmac_f16_e32 v28, v84, v66
	v_fmac_f16_e32 v45, 0x34f2, v59
	;; [unrolled: 1-line block ×3, first 2 shown]
	v_add_f16_e32 v62, v51, v62
	v_add_f16_e32 v57, v63, v117
	v_fma_f16 v51, -0.5, v65, v12
	v_sub_f16_e32 v65, v113, v119
	v_fmac_f16_e32 v43, 0x34f2, v59
	v_fmac_f16_e32 v3, 0x38b4, v52
	v_add_f16_e32 v59, v116, v122
	v_sub_f16_e32 v66, v116, v117
	v_sub_f16_e32 v68, v122, v121
	v_fmac_f16_e32 v49, 0x34f2, v62
	v_add_f16_e32 v57, v57, v121
	v_fmamk_f16 v52, v65, 0x3b9c, v51
	v_sub_f16_e32 v63, v114, v118
	v_fmac_f16_e32 v3, 0x34f2, v62
	v_fmac_f16_e32 v12, -0.5, v59
	v_add_f16_e32 v66, v66, v68
	v_fmac_f16_e32 v51, 0xbb9c, v65
	v_sub_f16_e32 v62, v117, v116
	v_sub_f16_e32 v68, v121, v122
	v_add_f16_e32 v70, v123, v124
	v_mul_f16_sdwa v44, v78, v102 dst_sel:DWORD dst_unused:UNUSED_PAD src0_sel:WORD_1 src1_sel:DWORD
	v_add_f16_e32 v59, v57, v122
	v_fmac_f16_e32 v52, 0x38b4, v63
	v_fmamk_f16 v57, v63, 0xbb9c, v12
	v_fmac_f16_e32 v51, 0xb8b4, v63
	v_add_f16_e32 v68, v62, v68
	v_add_f16_e32 v76, v4, v120
	v_fma_f16 v62, -0.5, v70, v4
	v_sub_f16_e32 v70, v125, v75
	v_fmac_f16_e32 v12, 0x3b9c, v63
	v_lshrrev_b32_e32 v23, 16, v4
	v_fmac_f16_e32 v44, v78, v89
	v_fmac_f16_e32 v52, 0x34f2, v66
	;; [unrolled: 1-line block ×4, first 2 shown]
	v_add_f16_e32 v66, v76, v123
	v_fmamk_f16 v63, v70, 0xbb9c, v62
	v_sub_f16_e32 v76, v126, v74
	v_sub_f16_e32 v77, v120, v123
	;; [unrolled: 1-line block ×3, first 2 shown]
	v_add_f16_e32 v79, v120, v127
	v_fmac_f16_e32 v12, 0xb8b4, v65
	v_fmac_f16_e32 v62, 0x3b9c, v70
	;; [unrolled: 1-line block ×4, first 2 shown]
	v_add_f16_e32 v77, v77, v78
	v_fma_f16 v4, -0.5, v79, v4
	v_fmac_f16_e32 v12, 0x34f2, v68
	v_sub_f16_e32 v68, v123, v120
	v_sub_f16_e32 v78, v124, v127
	v_fmac_f16_e32 v62, 0x38b4, v76
	v_add_f16_e32 v79, v23, v125
	v_add_f16_e32 v80, v126, v74
	;; [unrolled: 1-line block ×3, first 2 shown]
	v_fmac_f16_e32 v63, 0x34f2, v77
	v_fmamk_f16 v66, v76, 0x3b9c, v4
	v_add_f16_e32 v78, v68, v78
	v_fmac_f16_e32 v4, 0xbb9c, v76
	v_add_f16_e32 v76, v79, v126
	v_fma_f16 v68, -0.5, v80, v23
	v_sub_f16_e32 v79, v120, v127
	v_fmac_f16_e32 v62, 0x34f2, v77
	v_add_f16_e32 v77, v125, v75
	v_sub_f16_e32 v81, v125, v126
	v_sub_f16_e32 v82, v75, v74
	v_fmac_f16_e32 v66, 0xb8b4, v70
	v_fmac_f16_e32 v4, 0x38b4, v70
	v_add_f16_e32 v76, v76, v74
	v_fmamk_f16 v70, v79, 0x3b9c, v68
	v_sub_f16_e32 v80, v123, v124
	v_fmac_f16_e32 v23, -0.5, v77
	v_add_f16_e32 v77, v81, v82
	v_fmac_f16_e32 v68, 0xbb9c, v79
	v_sub_f16_e32 v81, v126, v125
	v_sub_f16_e32 v74, v74, v75
	v_add_f16_e32 v76, v76, v75
	v_fmac_f16_e32 v70, 0x38b4, v80
	v_add_f16_e32 v75, v72, v91
	v_fmac_f16_e32 v68, 0xb8b4, v80
	v_add_f16_e32 v74, v81, v74
	v_add_f16_e32 v81, v5, v128
	v_lshrrev_b32_e32 v21, 16, v5
	v_fma_f16 v25, v85, v107, -v25
	v_fmac_f16_e32 v66, 0x34f2, v78
	v_fmac_f16_e32 v4, 0x34f2, v78
	v_fmamk_f16 v78, v80, 0xbb9c, v23
	v_fmac_f16_e32 v70, 0x34f2, v77
	v_fma_f16 v75, -0.5, v75, v5
	v_sub_f16_e32 v82, v67, v71
	v_fmac_f16_e32 v68, 0x34f2, v77
	v_fmac_f16_e32 v23, 0x3b9c, v80
	v_add_f16_e32 v77, v81, v72
	v_add_f16_e32 v85, v128, v129
	v_fma_f16 v24, v84, v104, -v24
	v_mul_f16_sdwa v30, v86, v108 dst_sel:DWORD dst_unused:UNUSED_PAD src0_sel:WORD_1 src1_sel:DWORD
	v_fmac_f16_e32 v78, 0x38b4, v79
	v_fmamk_f16 v80, v82, 0xbb9c, v75
	v_sub_f16_e32 v81, v69, v73
	v_sub_f16_e32 v83, v128, v72
	;; [unrolled: 1-line block ×3, first 2 shown]
	v_fmac_f16_e32 v23, 0xb8b4, v79
	v_add_f16_e32 v77, v77, v91
	v_fmac_f16_e32 v5, -0.5, v85
	v_fmac_f16_e32 v75, 0x3b9c, v82
	v_add_f16_e32 v85, v21, v67
	v_fmac_f16_e32 v30, v86, v90
	v_fmac_f16_e32 v78, 0x34f2, v74
	;; [unrolled: 1-line block ×3, first 2 shown]
	v_add_f16_e32 v79, v83, v84
	v_fmac_f16_e32 v23, 0x34f2, v74
	v_add_f16_e32 v74, v77, v129
	v_fmamk_f16 v77, v81, 0x3b9c, v5
	v_sub_f16_e32 v83, v72, v128
	v_sub_f16_e32 v84, v91, v129
	v_fmac_f16_e32 v75, 0x38b4, v81
	v_add_f16_e32 v86, v69, v73
	v_fmac_f16_e32 v5, 0xbb9c, v81
	v_add_f16_e32 v81, v85, v69
	v_mul_f16_sdwa v35, v87, v109 dst_sel:DWORD dst_unused:UNUSED_PAD src0_sel:WORD_1 src1_sel:DWORD
	v_fmac_f16_e32 v80, 0x34f2, v79
	v_fmac_f16_e32 v77, 0xb8b4, v82
	v_add_f16_e32 v83, v83, v84
	v_fma_f16 v84, -0.5, v86, v21
	v_sub_f16_e32 v85, v128, v129
	v_fmac_f16_e32 v75, 0x34f2, v79
	v_fmac_f16_e32 v5, 0x38b4, v82
	v_add_f16_e32 v79, v81, v73
	v_add_f16_e32 v82, v67, v71
	v_sub_f16_e32 v86, v67, v69
	v_sub_f16_e32 v67, v69, v67
	;; [unrolled: 1-line block ×3, first 2 shown]
	v_fmac_f16_e32 v35, v87, v92
	v_fmamk_f16 v81, v85, 0x3b9c, v84
	v_sub_f16_e32 v72, v72, v91
	v_sub_f16_e32 v87, v71, v73
	v_fmac_f16_e32 v21, -0.5, v82
	v_add_f16_e32 v79, v79, v71
	v_fmac_f16_e32 v84, 0xbb9c, v85
	v_add_f16_e32 v71, v55, v56
	v_add_f16_e32 v67, v67, v69
	s_waitcnt lgkmcnt(0)
	v_add_f16_e32 v69, v6, v61
	v_lshrrev_b32_e32 v22, 16, v6
	v_fmac_f16_e32 v77, 0x34f2, v83
	v_fmac_f16_e32 v5, 0x34f2, v83
	;; [unrolled: 1-line block ×3, first 2 shown]
	v_add_f16_e32 v82, v86, v87
	v_fmamk_f16 v83, v72, 0xbb9c, v21
	v_fmac_f16_e32 v84, 0xb8b4, v72
	v_fma_f16 v71, -0.5, v71, v6
	v_sub_f16_e32 v73, v53, v60
	v_fmac_f16_e32 v21, 0x3b9c, v72
	v_add_f16_e32 v69, v69, v55
	v_add_f16_e32 v89, v61, v64
	v_fmac_f16_e32 v81, 0x34f2, v82
	v_fmac_f16_e32 v83, 0x38b4, v85
	;; [unrolled: 1-line block ×3, first 2 shown]
	v_fmamk_f16 v72, v73, 0xbb9c, v71
	v_sub_f16_e32 v82, v54, v58
	v_sub_f16_e32 v86, v61, v55
	;; [unrolled: 1-line block ×3, first 2 shown]
	v_fmac_f16_e32 v21, 0xb8b4, v85
	v_add_f16_e32 v69, v69, v56
	v_fma_f16 v6, -0.5, v89, v6
	v_fmac_f16_e32 v71, 0x3b9c, v73
	v_add_f16_e32 v89, v22, v53
	v_fmac_f16_e32 v83, 0x34f2, v67
	v_fmac_f16_e32 v72, 0xb8b4, v82
	v_add_f16_e32 v85, v86, v87
	v_fmac_f16_e32 v21, 0x34f2, v67
	v_add_f16_e32 v67, v69, v64
	v_fmamk_f16 v69, v82, 0x3b9c, v6
	v_sub_f16_e32 v86, v55, v61
	v_sub_f16_e32 v87, v56, v64
	v_fmac_f16_e32 v71, 0x38b4, v82
	v_add_f16_e32 v90, v54, v58
	v_fmac_f16_e32 v6, 0xbb9c, v82
	v_add_f16_e32 v82, v89, v54
	v_add_f16_e32 v86, v86, v87
	v_sub_f16_e32 v61, v61, v64
	v_fma_f16 v87, -0.5, v90, v22
	v_sub_f16_e32 v55, v55, v56
	v_add_f16_e32 v64, v82, v58
	v_add_f16_e32 v82, v53, v60
	v_sub_f16_e32 v56, v53, v54
	v_sub_f16_e32 v53, v54, v53
	;; [unrolled: 1-line block ×3, first 2 shown]
	v_fmac_f16_e32 v72, 0x34f2, v85
	v_fmac_f16_e32 v69, 0xb8b4, v73
	;; [unrolled: 1-line block ×4, first 2 shown]
	v_fmamk_f16 v73, v61, 0x3b9c, v87
	v_sub_f16_e32 v85, v60, v58
	v_fmac_f16_e32 v22, -0.5, v82
	v_fmac_f16_e32 v87, 0xbb9c, v61
	v_add_f16_e32 v53, v53, v54
	v_add_f16_e32 v54, v7, v46
	v_fmac_f16_e32 v73, 0x38b4, v55
	v_add_f16_e32 v56, v56, v85
	v_fmamk_f16 v82, v55, 0xbb9c, v22
	v_add_f16_e32 v58, v41, v44
	v_fmac_f16_e32 v87, 0xb8b4, v55
	v_fmac_f16_e32 v22, 0x3b9c, v55
	v_add_f16_e32 v54, v54, v41
	v_add_f16_e32 v89, v46, v48
	v_lshrrev_b32_e32 v20, 16, v7
	v_fmac_f16_e32 v69, 0x34f2, v86
	v_fmac_f16_e32 v6, 0x34f2, v86
	v_add_f16_e32 v64, v64, v60
	v_fmac_f16_e32 v73, 0x34f2, v56
	v_fmac_f16_e32 v82, 0x38b4, v61
	v_fma_f16 v58, -0.5, v58, v7
	v_sub_f16_e32 v60, v37, v47
	v_fmac_f16_e32 v87, 0x34f2, v56
	v_sub_f16_e32 v56, v40, v42
	v_sub_f16_e32 v85, v46, v41
	;; [unrolled: 1-line block ×3, first 2 shown]
	v_fmac_f16_e32 v22, 0xb8b4, v61
	v_add_f16_e32 v54, v54, v44
	v_fmac_f16_e32 v7, -0.5, v89
	v_fmac_f16_e32 v82, 0x34f2, v53
	v_fmamk_f16 v55, v60, 0xbb9c, v58
	v_add_f16_e32 v61, v85, v86
	v_fmac_f16_e32 v22, 0x34f2, v53
	v_add_f16_e32 v53, v54, v48
	v_fmac_f16_e32 v58, 0x3b9c, v60
	v_fmamk_f16 v54, v56, 0x3b9c, v7
	v_sub_f16_e32 v85, v41, v46
	v_sub_f16_e32 v86, v44, v48
	v_add_f16_e32 v89, v20, v37
	v_add_f16_e32 v90, v40, v42
	v_fmac_f16_e32 v7, 0xbb9c, v56
	v_fmac_f16_e32 v55, 0xb8b4, v56
	;; [unrolled: 1-line block ×4, first 2 shown]
	v_add_f16_e32 v85, v85, v86
	v_add_f16_e32 v56, v89, v40
	v_fma_f16 v86, -0.5, v90, v20
	v_sub_f16_e32 v46, v46, v48
	v_fmac_f16_e32 v7, 0x38b4, v60
	v_add_f16_e32 v60, v37, v47
	v_fmac_f16_e32 v55, 0x34f2, v61
	v_fmac_f16_e32 v58, 0x34f2, v61
	v_add_f16_e32 v48, v56, v42
	v_fmamk_f16 v56, v46, 0x3b9c, v86
	v_sub_f16_e32 v41, v41, v44
	v_sub_f16_e32 v44, v37, v40
	;; [unrolled: 1-line block ×3, first 2 shown]
	v_fmac_f16_e32 v20, -0.5, v60
	v_fmac_f16_e32 v86, 0xbb9c, v46
	v_sub_f16_e32 v37, v40, v37
	v_sub_f16_e32 v40, v42, v47
	v_add_f16_e32 v42, v26, v30
	v_fmac_f16_e32 v56, 0x38b4, v41
	v_add_f16_e32 v44, v44, v61
	v_fmamk_f16 v60, v41, 0xbb9c, v20
	v_fmac_f16_e32 v86, 0xb8b4, v41
	v_add_f16_e32 v37, v37, v40
	v_fmac_f16_e32 v20, 0x3b9c, v41
	v_add_f16_e32 v40, v0, v28
	v_fma_f16 v41, -0.5, v42, v0
	v_sub_f16_e32 v42, v24, v33
	v_fmac_f16_e32 v54, 0x34f2, v85
	v_fmac_f16_e32 v7, 0x34f2, v85
	v_add_f16_e32 v48, v48, v47
	v_fmac_f16_e32 v56, 0x34f2, v44
	v_fmac_f16_e32 v60, 0x38b4, v46
	;; [unrolled: 1-line block ×4, first 2 shown]
	v_add_f16_e32 v40, v40, v26
	v_fmamk_f16 v44, v42, 0xbb9c, v41
	v_sub_f16_e32 v46, v25, v29
	v_sub_f16_e32 v47, v28, v26
	;; [unrolled: 1-line block ×3, first 2 shown]
	v_fmac_f16_e32 v41, 0x3b9c, v42
	v_add_f16_e32 v85, v28, v35
	v_lshrrev_b32_e32 v9, 16, v0
	v_add_f16_e32 v40, v40, v30
	v_fmac_f16_e32 v44, 0xb8b4, v46
	v_add_f16_e32 v47, v47, v61
	v_fmac_f16_e32 v41, 0x38b4, v46
	v_fmac_f16_e32 v0, -0.5, v85
	v_sub_f16_e32 v61, v26, v28
	v_sub_f16_e32 v85, v30, v35
	v_fmac_f16_e32 v60, 0x34f2, v37
	v_fmac_f16_e32 v20, 0x34f2, v37
	v_add_f16_e32 v37, v40, v35
	v_fmac_f16_e32 v44, 0x34f2, v47
	v_fmac_f16_e32 v41, 0x34f2, v47
	v_fmamk_f16 v40, v46, 0x3b9c, v0
	v_add_f16_e32 v47, v25, v29
	v_fmac_f16_e32 v0, 0xbb9c, v46
	v_sub_f16_e32 v28, v28, v35
	v_add_f16_e32 v35, v61, v85
	v_add_f16_e32 v61, v24, v33
	v_add_f16_e32 v46, v9, v24
	v_fma_f16 v47, -0.5, v47, v9
	v_fmac_f16_e32 v40, 0xb8b4, v42
	v_fmac_f16_e32 v0, 0x38b4, v42
	v_sub_f16_e32 v26, v26, v30
	v_fmac_f16_e32 v9, -0.5, v61
	v_add_f16_e32 v42, v46, v25
	v_fmac_f16_e32 v40, 0x34f2, v35
	v_fmac_f16_e32 v0, 0x34f2, v35
	v_sub_f16_e32 v35, v24, v25
	v_fmamk_f16 v61, v26, 0xbb9c, v9
	v_sub_f16_e32 v24, v25, v24
	v_sub_f16_e32 v25, v29, v33
	v_fmac_f16_e32 v9, 0x3b9c, v26
	v_fmamk_f16 v46, v28, 0x3b9c, v47
	v_fmac_f16_e32 v47, 0xbb9c, v28
	v_add_f16_e32 v38, v38, v115
	v_fmac_f16_e32 v61, 0x38b4, v28
	v_add_f16_e32 v24, v24, v25
	v_fmac_f16_e32 v9, 0xb8b4, v28
	v_fmac_f16_e32 v46, 0x38b4, v26
	;; [unrolled: 1-line block ×3, first 2 shown]
	v_pack_b32_f16 v26, v27, v36
	v_pack_b32_f16 v27, v32, v39
	;; [unrolled: 1-line block ×4, first 2 shown]
	v_fmac_f16_e32 v61, 0x34f2, v24
	v_fmac_f16_e32 v9, 0x34f2, v24
	v_pack_b32_f16 v24, v31, v38
	v_pack_b32_f16 v8, v50, v59
	v_add_f16_e32 v65, v65, v127
	ds_write_b32 v139, v26 offset:1540
	ds_write_b32 v139, v27 offset:3080
	ds_write_b32 v139, v2 offset:4620
	ds_write_b32 v139, v1 offset:6160
	ds_write2_b32 v139, v24, v8 offset1:55
	v_pack_b32_f16 v1, v45, v52
	v_pack_b32_f16 v3, v3, v12
	;; [unrolled: 1-line block ×7, first 2 shown]
	ds_write2_b32 v15, v1, v12 offset0:184 offset1:239
	ds_write2_b32 v19, v2, v24 offset0:57 offset1:112
	v_pack_b32_f16 v1, v74, v79
	v_pack_b32_f16 v8, v43, v51
	;; [unrolled: 1-line block ×3, first 2 shown]
	ds_write2_b32 v17, v3, v4 offset0:186 offset1:241
	ds_write2_b32 v13, v8, v23 offset0:59 offset1:114
	v_pack_b32_f16 v2, v77, v83
	ds_write2_b32 v139, v26, v1 offset0:110 offset1:165
	v_pack_b32_f16 v1, v75, v84
	v_add_f16_e32 v30, v42, v29
	v_sub_f16_e32 v42, v33, v29
	v_pack_b32_f16 v3, v5, v21
	v_pack_b32_f16 v4, v80, v81
	ds_write_b32 v139, v2 offset:3740
	ds_write_b32 v139, v3 offset:5280
	v_pack_b32_f16 v2, v72, v73
	ds_write_b32 v139, v1 offset:6820
	v_pack_b32_f16 v1, v6, v22
	v_add_f16_e32 v29, v35, v42
	v_pack_b32_f16 v5, v71, v87
	v_add_f16_e32 v25, v30, v33
	v_pack_b32_f16 v3, v67, v64
	ds_write2_b32 v18, v4, v2 offset0:38 offset1:93
	v_pack_b32_f16 v2, v69, v82
	ds_write_b32 v139, v1 offset:5500
	v_pack_b32_f16 v1, v53, v48
	v_pack_b32_f16 v4, v54, v60
	v_fmac_f16_e32 v46, 0x34f2, v29
	ds_write_b32 v139, v5 offset:7040
	v_pack_b32_f16 v5, v7, v20
	v_pack_b32_f16 v6, v58, v86
	v_fmac_f16_e32 v47, 0x34f2, v29
	ds_write2_b32 v11, v3, v1 offset0:92 offset1:147
	ds_write2_b32 v14, v2, v4 offset0:94 offset1:149
	ds_write_b32 v139, v5 offset:5720
	ds_write_b32 v139, v6 offset:7260
	v_pack_b32_f16 v2, v37, v25
	v_pack_b32_f16 v1, v55, v56
	;; [unrolled: 1-line block ×6, first 2 shown]
	ds_write_b32 v139, v2 offset:1320
	ds_write2_b32 v18, v1, v3 offset0:148 offset1:203
	ds_write_b32 v139, v4 offset:4400
	ds_write_b32 v139, v0 offset:5940
	;; [unrolled: 1-line block ×3, first 2 shown]
	s_waitcnt lgkmcnt(0)
	s_barrier
	buffer_gl0_inv
	ds_read2_b32 v[8:9], v139 offset1:55
	s_mul_hi_u32 s3, s4, 0x44c
	s_waitcnt lgkmcnt(0)
	v_lshrrev_b32_e32 v2, 16, v8
	v_mul_f16_sdwa v3, v175, v8 dst_sel:DWORD dst_unused:UNUSED_PAD src0_sel:WORD_1 src1_sel:DWORD
	v_mul_f16_sdwa v0, v175, v2 dst_sel:DWORD dst_unused:UNUSED_PAD src0_sel:WORD_1 src1_sel:DWORD
	v_fma_f16 v2, v175, v2, -v3
	v_fmac_f16_e32 v0, v175, v8
	v_cvt_f32_f16_e32 v2, v2
	v_mad_u64_u32 v[7:8], null, s6, v88, 0
	s_mul_i32 s6, s4, 0x44c
	v_cvt_f32_f16_e32 v0, v0
	v_cvt_f64_f32_e32 v[2:3], v2
	v_cvt_f64_f32_e32 v[0:1], v0
	v_mul_f64 v[5:6], v[2:3], s[8:9]
	ds_read2_b32 v[3:4], v11 offset0:92 offset1:147
	v_mul_f64 v[0:1], v[0:1], s[8:9]
	s_waitcnt lgkmcnt(0)
	v_lshrrev_b32_e32 v22, 16, v4
	v_and_or_b32 v5, 0x1ff, v6, v5
	v_bfe_u32 v23, v6, 20, 11
	v_and_or_b32 v0, 0x1ff, v1, v0
	v_lshrrev_b32_e32 v2, 8, v1
	v_bfe_u32 v12, v1, 20, 11
	v_mul_f16_sdwa v25, v174, v22 dst_sel:DWORD dst_unused:UNUSED_PAD src0_sel:WORD_1 src1_sel:DWORD
	v_cmp_ne_u32_e32 vcc_lo, 0, v0
	v_add_nc_u32_e32 v24, 0xfffffc10, v12
	v_fmac_f16_e32 v25, v174, v4
	v_mul_f16_sdwa v4, v174, v4 dst_sel:DWORD dst_unused:UNUSED_PAD src0_sel:WORD_1 src1_sel:DWORD
	v_cndmask_b32_e64 v0, 0, 1, vcc_lo
	v_cmp_ne_u32_e32 vcc_lo, 0, v5
	v_cmp_eq_u32_e64 s1, 0x40f, v24
	v_fma_f16 v4, v174, v22, -v4
	v_and_or_b32 v2, 0xffe, v2, v0
	v_sub_nc_u32_e32 v0, 0x3f1, v12
	v_cndmask_b32_e64 v5, 0, 1, vcc_lo
	v_cvt_f32_f16_e32 v4, v4
	v_or_b32_e32 v11, 0x1000, v2
	v_med3_i32 v20, v0, 0, 13
	v_mov_b32_e32 v0, v8
	v_lshrrev_b32_e32 v21, v20, v11
	v_lshlrev_b32_e32 v8, v20, v21
	v_lshrrev_b32_e32 v20, 8, v6
	v_lshrrev_b32_e32 v6, 16, v6
	v_cmp_ne_u32_e32 vcc_lo, v8, v11
	v_and_or_b32 v5, 0xffe, v20, v5
	v_sub_nc_u32_e32 v11, 0x3f1, v23
	v_lshl_or_b32 v20, v24, 12, v2
	v_add_nc_u32_e32 v23, 0xfffffc10, v23
	v_cndmask_b32_e64 v8, 0, 1, vcc_lo
	v_or_b32_e32 v26, 0x1000, v5
	v_med3_i32 v27, v11, 0, 13
	v_mad_u64_u32 v[11:12], null, s7, v88, v[0:1]
	v_or_b32_e32 v8, v21, v8
	v_cvt_f32_f16_e32 v0, v25
	v_cmp_gt_i32_e32 vcc_lo, 1, v24
	v_lshrrev_b32_e32 v25, v27, v26
	v_cndmask_b32_e32 v12, v20, v8, vcc_lo
	v_lshlrev_b32_e32 v27, v27, v25
	v_cvt_f64_f32_e32 v[20:21], v0
	v_mov_b32_e32 v8, v11
	v_and_b32_e32 v0, 7, v12
	v_cmp_ne_u32_e64 s0, v27, v26
	v_cmp_lt_i32_e32 vcc_lo, 5, v0
	v_cndmask_b32_e64 v11, 0, 1, s0
	v_cmp_eq_u32_e64 s0, 3, v0
	v_lshrrev_b32_e32 v0, 2, v12
	v_lshl_or_b32 v12, v23, 12, v5
	v_or_b32_e32 v11, v25, v11
	s_or_b32 vcc_lo, s0, vcc_lo
	v_add_co_ci_u32_e32 v0, vcc_lo, 0, v0, vcc_lo
	v_cmp_gt_i32_e32 vcc_lo, 1, v23
	v_cndmask_b32_e32 v22, v12, v11, vcc_lo
	v_cmp_ne_u32_e32 vcc_lo, 0, v2
	v_mul_f64 v[11:12], v[20:21], s[8:9]
	v_cvt_f64_f32_e32 v[20:21], v4
	v_and_b32_e32 v25, 7, v22
	v_cndmask_b32_e64 v2, 0, 1, vcc_lo
	v_cmp_gt_i32_e32 vcc_lo, 31, v24
	v_lshrrev_b32_e32 v4, 2, v22
	v_lshrrev_b32_e32 v24, 16, v1
	v_cmp_eq_u32_e64 s0, 3, v25
	v_lshl_or_b32 v2, v2, 9, 0x7c00
	v_cndmask_b32_e32 v0, 0x7c00, v0, vcc_lo
	v_cmp_lt_i32_e32 vcc_lo, 5, v25
	v_cndmask_b32_e64 v22, v0, v2, s1
	s_or_b32 vcc_lo, s0, vcc_lo
	v_add_co_ci_u32_e32 v0, vcc_lo, 0, v4, vcc_lo
	v_cmp_ne_u32_e32 vcc_lo, 0, v5
	ds_read2_b32 v[4:5], v18 offset0:38 offset1:93
	v_and_or_b32 v11, 0x1ff, v12, v11
	v_mul_f64 v[20:21], v[20:21], s[8:9]
	v_lshrrev_b32_e32 v26, 8, v12
	v_cndmask_b32_e64 v1, 0, 1, vcc_lo
	v_cmp_gt_i32_e32 vcc_lo, 31, v23
	v_bfe_u32 v27, v12, 20, 11
	v_lshrrev_b32_e32 v12, 16, v12
	v_lshl_or_b32 v25, v1, 9, 0x7c00
	v_cndmask_b32_e32 v2, 0x7c00, v0, vcc_lo
	v_cmp_ne_u32_e32 vcc_lo, 0, v11
	v_mad_u64_u32 v[0:1], null, s4, v172, 0
	v_cndmask_b32_e64 v11, 0, 1, vcc_lo
	v_cmp_eq_u32_e32 vcc_lo, 0x40f, v23
	v_and_or_b32 v11, 0xffe, v26, v11
	v_cndmask_b32_e32 v23, v2, v25, vcc_lo
	v_mad_u64_u32 v[1:2], null, s5, v172, v[1:2]
	v_sub_nc_u32_e32 v25, 0x3f1, v27
	v_and_or_b32 v2, 0x8000, v24, v22
	s_waitcnt lgkmcnt(0)
	v_lshrrev_b32_e32 v24, 16, v4
	v_or_b32_e32 v22, 0x1000, v11
	v_and_or_b32 v6, 0x8000, v6, v23
	v_med3_i32 v25, v25, 0, 13
	v_and_b32_e32 v2, 0xffff, v2
	v_mul_f16_sdwa v23, v173, v24 dst_sel:DWORD dst_unused:UNUSED_PAD src0_sel:WORD_1 src1_sel:DWORD
	v_and_or_b32 v20, 0x1ff, v21, v20
	v_bfe_u32 v29, v21, 20, 11
	v_lshrrev_b32_e32 v26, v25, v22
	v_lshl_or_b32 v28, v6, 16, v2
	v_fmac_f16_e32 v23, v173, v4
	v_cmp_ne_u32_e32 vcc_lo, 0, v20
	v_lshlrev_b64 v[6:7], 2, v[7:8]
	v_lshlrev_b32_e32 v2, v25, v26
	v_lshrrev_b32_e32 v25, 8, v21
	v_cvt_f32_f16_e32 v20, v23
	v_cndmask_b32_e64 v8, 0, 1, vcc_lo
	v_lshlrev_b64 v[0:1], 2, v[0:1]
	v_cmp_ne_u32_e32 vcc_lo, v2, v22
	v_mul_f16_sdwa v4, v173, v4 dst_sel:DWORD dst_unused:UNUSED_PAD src0_sel:WORD_1 src1_sel:DWORD
	v_cvt_f64_f32_e32 v[22:23], v20
	v_and_or_b32 v8, 0xffe, v25, v8
	v_sub_nc_u32_e32 v25, 0x3f1, v29
	v_cndmask_b32_e64 v2, 0, 1, vcc_lo
	v_add_nc_u32_e32 v20, 0xfffffc10, v27
	v_add_co_u32 v6, vcc_lo, s12, v6
	v_or_b32_e32 v27, 0x1000, v8
	v_med3_i32 v25, v25, 0, 13
	v_add_co_ci_u32_e32 v7, vcc_lo, s13, v7, vcc_lo
	v_or_b32_e32 v2, v26, v2
	v_lshl_or_b32 v26, v20, 12, v11
	v_cmp_gt_i32_e32 vcc_lo, 1, v20
	v_lshrrev_b32_e32 v30, v25, v27
	v_fma_f16 v4, v173, v24, -v4
	v_add_nc_u32_e32 v24, 0xfffffc10, v29
	v_cndmask_b32_e32 v26, v26, v2, vcc_lo
	v_add_co_u32 v6, vcc_lo, v6, v0
	v_add_co_ci_u32_e32 v7, vcc_lo, v7, v1, vcc_lo
	v_mul_f64 v[1:2], v[22:23], s[8:9]
	v_lshlrev_b32_e32 v22, v25, v30
	v_and_b32_e32 v0, 7, v26
	v_cvt_f32_f16_e32 v4, v4
	global_store_dword v[6:7], v28, off
	v_cmp_ne_u32_e64 s0, v22, v27
	v_cmp_lt_i32_e32 vcc_lo, 5, v0
	v_cndmask_b32_e64 v22, 0, 1, s0
	v_cmp_eq_u32_e64 s0, 3, v0
	v_lshrrev_b32_e32 v0, 2, v26
	v_lshl_or_b32 v26, v24, 12, v8
	v_or_b32_e32 v25, v30, v22
	s_or_b32 vcc_lo, s0, vcc_lo
	v_cvt_f64_f32_e32 v[22:23], v4
	v_add_co_ci_u32_e32 v0, vcc_lo, 0, v0, vcc_lo
	v_cmp_ne_u32_e32 vcc_lo, 0, v11
	v_lshrrev_b32_e32 v28, 8, v2
	v_bfe_u32 v29, v2, 20, 11
	v_cndmask_b32_e64 v4, 0, 1, vcc_lo
	v_cmp_gt_i32_e32 vcc_lo, 1, v24
	v_lshl_or_b32 v4, v4, 9, 0x7c00
	v_cndmask_b32_e32 v11, v26, v25, vcc_lo
	v_and_or_b32 v25, 0x1ff, v2, v1
	v_cmp_gt_i32_e32 vcc_lo, 31, v20
	v_and_b32_e32 v27, 7, v11
	v_lshrrev_b32_e32 v11, 2, v11
	v_cndmask_b32_e32 v26, 0x7c00, v0, vcc_lo
	v_cmp_ne_u32_e32 vcc_lo, 0, v25
	ds_read2_b32 v[0:1], v19 offset0:2 offset1:57
	v_cmp_eq_u32_e64 s0, 3, v27
	v_mul_f64 v[22:23], v[22:23], s[8:9]
	v_cndmask_b32_e64 v25, 0, 1, vcc_lo
	v_cmp_eq_u32_e32 vcc_lo, 0x40f, v20
	v_sub_nc_u32_e32 v20, 0x3f1, v29
	v_add_nc_u32_e32 v29, 0xfffffc10, v29
	v_cndmask_b32_e32 v4, v26, v4, vcc_lo
	v_cmp_lt_i32_e32 vcc_lo, 5, v27
	v_and_or_b32 v26, 0xffe, v28, v25
	v_med3_i32 v20, v20, 0, 13
	v_and_or_b32 v4, 0x8000, v12, v4
	s_or_b32 vcc_lo, s0, vcc_lo
	v_or_b32_e32 v25, 0x1000, v26
	v_add_co_ci_u32_e32 v11, vcc_lo, 0, v11, vcc_lo
	v_cmp_ne_u32_e32 vcc_lo, 0, v8
	s_waitcnt lgkmcnt(0)
	v_lshrrev_b32_e32 v27, 16, v1
	v_lshrrev_b32_e32 v28, v20, v25
	v_and_b32_e32 v4, 0xffff, v4
	s_mul_i32 s0, s5, 0x44c
	v_cndmask_b32_e64 v8, 0, 1, vcc_lo
	v_cmp_gt_i32_e32 vcc_lo, 31, v24
	v_lshlrev_b32_e32 v12, v20, v28
	v_mul_f16_sdwa v30, v171, v27 dst_sel:DWORD dst_unused:UNUSED_PAD src0_sel:WORD_1 src1_sel:DWORD
	v_lshrrev_b32_e32 v20, 16, v21
	v_lshl_or_b32 v8, v8, 9, 0x7c00
	v_cndmask_b32_e32 v11, 0x7c00, v11, vcc_lo
	v_cmp_eq_u32_e32 vcc_lo, 0x40f, v24
	v_fmac_f16_e32 v30, v171, v1
	v_lshrrev_b32_e32 v24, 8, v23
	v_mul_f16_sdwa v1, v171, v1 dst_sel:DWORD dst_unused:UNUSED_PAD src0_sel:WORD_1 src1_sel:DWORD
	s_add_i32 s3, s3, s0
	v_cndmask_b32_e32 v8, v11, v8, vcc_lo
	v_and_or_b32 v11, 0x1ff, v23, v22
	v_cmp_ne_u32_e32 vcc_lo, v12, v25
	v_cvt_f32_f16_e32 v12, v30
	v_bfe_u32 v25, v23, 20, 11
	v_and_or_b32 v8, 0x8000, v20, v8
	v_fma_f16 v1, v171, v27, -v1
	v_cndmask_b32_e64 v21, 0, 1, vcc_lo
	v_cmp_ne_u32_e32 vcc_lo, 0, v11
	v_cvt_f64_f32_e32 v[11:12], v12
	v_sub_nc_u32_e32 v20, 0x3f1, v25
	v_lshl_or_b32 v4, v8, 16, v4
	v_or_b32_e32 v21, v28, v21
	v_cndmask_b32_e64 v22, 0, 1, vcc_lo
	v_cmp_gt_i32_e32 vcc_lo, 1, v29
	v_med3_i32 v20, v20, 0, 13
	v_cvt_f32_f16_e32 v1, v1
	v_and_or_b32 v22, 0xffe, v24, v22
	v_lshl_or_b32 v24, v29, 12, v26
	v_or_b32_e32 v28, 0x1000, v22
	v_cndmask_b32_e32 v24, v24, v21, vcc_lo
	v_lshrrev_b32_e32 v8, v20, v28
	v_and_b32_e32 v30, 7, v24
	v_mul_f64 v[11:12], v[11:12], s[8:9]
	v_lshlrev_b32_e32 v20, v20, v8
	v_cmp_lt_i32_e32 vcc_lo, 5, v30
	v_cmp_ne_u32_e64 s0, v20, v28
	v_cvt_f64_f32_e32 v[20:21], v1
	v_lshrrev_b32_e32 v1, 2, v24
	v_add_nc_u32_e32 v28, 0xfffffc10, v25
	v_cndmask_b32_e64 v27, 0, 1, s0
	v_cmp_eq_u32_e64 s0, 3, v30
	v_lshl_or_b32 v24, v28, 12, v22
	v_or_b32_e32 v8, v8, v27
	s_or_b32 vcc_lo, s0, vcc_lo
	v_add_co_ci_u32_e32 v1, vcc_lo, 0, v1, vcc_lo
	v_cmp_gt_i32_e32 vcc_lo, 1, v28
	v_lshrrev_b32_e32 v30, 8, v12
	v_bfe_u32 v31, v12, 20, 11
	v_cndmask_b32_e32 v27, v24, v8, vcc_lo
	v_add_co_u32 v24, vcc_lo, v6, s6
	v_add_co_ci_u32_e32 v25, vcc_lo, s3, v7, vcc_lo
	v_cmp_gt_i32_e32 vcc_lo, 31, v29
	v_and_or_b32 v7, 0x1ff, v12, v11
	v_and_b32_e32 v6, 7, v27
	v_mul_f64 v[20:21], v[20:21], s[8:9]
	global_store_dword v[24:25], v4, off
	v_cndmask_b32_e32 v1, 0x7c00, v1, vcc_lo
	v_cmp_ne_u32_e32 vcc_lo, 0, v26
	v_cmp_ne_u32_e64 s0, 0, v7
	ds_read2_b32 v[7:8], v17 offset0:76 offset1:131
	v_cndmask_b32_e64 v11, 0, 1, vcc_lo
	v_cmp_lt_i32_e32 vcc_lo, 5, v6
	v_cndmask_b32_e64 v26, 0, 1, s0
	v_cmp_eq_u32_e64 s0, 3, v6
	v_lshl_or_b32 v6, v11, 9, 0x7c00
	v_lshrrev_b32_e32 v11, 2, v27
	v_and_or_b32 v26, 0xffe, v30, v26
	s_or_b32 vcc_lo, s0, vcc_lo
	v_sub_nc_u32_e32 v27, 0x3f1, v31
	v_add_co_ci_u32_e32 v11, vcc_lo, 0, v11, vcc_lo
	v_cmp_eq_u32_e32 vcc_lo, 0x40f, v29
	v_or_b32_e32 v30, 0x1000, v26
	v_med3_i32 v27, v27, 0, 13
	v_lshrrev_b32_e32 v29, 16, v2
	v_and_or_b32 v2, 0x1ff, v21, v20
	v_cndmask_b32_e32 v6, v1, v6, vcc_lo
	v_cmp_gt_i32_e32 vcc_lo, 31, v28
	v_lshrrev_b32_e32 v1, v27, v30
	s_waitcnt lgkmcnt(0)
	v_lshrrev_b32_e32 v20, 16, v7
	v_lshrrev_b32_e32 v33, 8, v21
	v_bfe_u32 v34, v21, 20, 11
	v_cndmask_b32_e32 v11, 0x7c00, v11, vcc_lo
	v_cmp_ne_u32_e32 vcc_lo, 0, v22
	v_lshlrev_b32_e32 v27, v27, v1
	v_mul_f16_sdwa v32, v170, v20 dst_sel:DWORD dst_unused:UNUSED_PAD src0_sel:WORD_1 src1_sel:DWORD
	v_cndmask_b32_e64 v22, 0, 1, vcc_lo
	v_cmp_ne_u32_e32 vcc_lo, 0, v2
	v_fmac_f16_e32 v32, v170, v7
	v_lshl_or_b32 v22, v22, 9, 0x7c00
	v_cndmask_b32_e64 v2, 0, 1, vcc_lo
	v_cmp_ne_u32_e32 vcc_lo, v27, v30
	v_add_nc_u32_e32 v30, 0xfffffc10, v31
	v_and_or_b32 v31, 0xffe, v33, v2
	v_cndmask_b32_e64 v27, 0, 1, vcc_lo
	v_sub_nc_u32_e32 v2, 0x3f1, v34
	v_cmp_gt_i32_e32 vcc_lo, 1, v30
	v_cmp_eq_u32_e64 s1, 0x40f, v30
	v_or_b32_e32 v33, 0x1000, v31
	v_or_b32_e32 v27, v1, v27
	v_cvt_f32_f16_e32 v1, v32
	v_lshl_or_b32 v32, v30, 12, v26
	v_med3_i32 v35, v2, 0, 13
	v_cvt_f64_f32_e32 v[1:2], v1
	v_cndmask_b32_e32 v27, v32, v27, vcc_lo
	v_lshrrev_b32_e32 v32, v35, v33
	v_cmp_eq_u32_e32 vcc_lo, 0x40f, v28
	v_and_or_b32 v28, 0x8000, v29, v6
	v_mul_f16_sdwa v6, v170, v7 dst_sel:DWORD dst_unused:UNUSED_PAD src0_sel:WORD_1 src1_sel:DWORD
	v_and_b32_e32 v4, 7, v27
	v_add_nc_u32_e32 v29, 0xfffffc10, v34
	v_cndmask_b32_e32 v11, v11, v22, vcc_lo
	v_lshrrev_b32_e32 v22, 16, v23
	v_lshlrev_b32_e32 v23, v35, v32
	v_fma_f16 v6, v170, v20, -v6
	v_cmp_lt_i32_e32 vcc_lo, 5, v4
	v_and_or_b32 v11, 0x8000, v22, v11
	v_cmp_ne_u32_e64 s0, v23, v33
	v_cvt_f32_f16_e32 v6, v6
	v_cndmask_b32_e64 v7, 0, 1, s0
	v_cmp_eq_u32_e64 s0, 3, v4
	v_lshrrev_b32_e32 v4, 2, v27
	v_mul_f64 v[22:23], v[1:2], s[8:9]
	v_lshl_or_b32 v27, v29, 12, v31
	v_or_b32_e32 v20, v32, v7
	s_or_b32 vcc_lo, s0, vcc_lo
	v_cvt_f64_f32_e32 v[6:7], v6
	v_add_co_ci_u32_e32 v4, vcc_lo, 0, v4, vcc_lo
	v_cmp_gt_i32_e32 vcc_lo, 1, v29
	ds_read2_b32 v[1:2], v10 offset0:40 offset1:95
	v_cndmask_b32_e32 v20, v27, v20, vcc_lo
	v_cmp_ne_u32_e32 vcc_lo, 0, v26
	v_and_b32_e32 v27, 0xffff, v28
	v_and_b32_e32 v28, 7, v20
	v_cndmask_b32_e64 v26, 0, 1, vcc_lo
	v_cmp_gt_i32_e32 vcc_lo, 31, v30
	v_lshl_or_b32 v32, v11, 16, v27
	v_lshrrev_b32_e32 v11, 2, v20
	v_cmp_eq_u32_e64 s0, 3, v28
	v_lshl_or_b32 v26, v26, 9, 0x7c00
	v_cndmask_b32_e32 v4, 0x7c00, v4, vcc_lo
	v_cmp_lt_i32_e32 vcc_lo, 5, v28
	v_and_or_b32 v20, 0x1ff, v23, v22
	v_bfe_u32 v27, v23, 20, 11
	s_waitcnt lgkmcnt(0)
	v_lshrrev_b32_e32 v28, 16, v2
	v_cndmask_b32_e64 v4, v4, v26, s1
	s_or_b32 vcc_lo, s0, vcc_lo
	v_lshrrev_b32_e32 v26, 16, v12
	v_add_co_ci_u32_e32 v22, vcc_lo, 0, v11, vcc_lo
	v_mul_f64 v[11:12], v[6:7], s[8:9]
	v_cmp_ne_u32_e32 vcc_lo, 0, v20
	v_lshrrev_b32_e32 v7, 8, v23
	v_mul_f16_sdwa v20, v169, v28 dst_sel:DWORD dst_unused:UNUSED_PAD src0_sel:WORD_1 src1_sel:DWORD
	v_and_or_b32 v4, 0x8000, v26, v4
	v_cndmask_b32_e64 v6, 0, 1, vcc_lo
	v_cmp_ne_u32_e32 vcc_lo, 0, v31
	v_fmac_f16_e32 v20, v169, v2
	v_and_b32_e32 v4, 0xffff, v4
	v_mul_f16_sdwa v2, v169, v2 dst_sel:DWORD dst_unused:UNUSED_PAD src0_sel:WORD_1 src1_sel:DWORD
	v_and_or_b32 v31, 0xffe, v7, v6
	v_cndmask_b32_e64 v30, 0, 1, vcc_lo
	v_sub_nc_u32_e32 v6, 0x3f1, v27
	v_cmp_gt_i32_e32 vcc_lo, 31, v29
	v_fma_f16 v2, v169, v28, -v2
	v_med3_i32 v33, v6, 0, 13
	v_cndmask_b32_e32 v7, 0x7c00, v22, vcc_lo
	v_lshl_or_b32 v22, v30, 9, 0x7c00
	v_or_b32_e32 v30, 0x1000, v31
	v_cmp_eq_u32_e32 vcc_lo, 0x40f, v29
	v_cvt_f32_f16_e32 v6, v20
	v_and_or_b32 v11, 0x1ff, v12, v11
	v_lshrrev_b32_e32 v29, 16, v21
	v_lshrrev_b32_e32 v34, v33, v30
	v_cndmask_b32_e32 v22, v7, v22, vcc_lo
	v_add_co_u32 v20, vcc_lo, v24, s6
	v_cvt_f64_f32_e32 v[6:7], v6
	v_add_co_ci_u32_e32 v21, vcc_lo, s3, v25, vcc_lo
	v_lshlrev_b32_e32 v24, v33, v34
	v_cmp_ne_u32_e32 vcc_lo, 0, v11
	v_and_or_b32 v22, 0x8000, v29, v22
	v_lshrrev_b32_e32 v25, 8, v12
	v_bfe_u32 v29, v12, 20, 11
	v_cvt_f32_f16_e32 v2, v2
	v_cndmask_b32_e64 v11, 0, 1, vcc_lo
	v_cmp_ne_u32_e32 vcc_lo, v24, v30
	v_add_nc_u32_e32 v30, 0xfffffc10, v27
	v_lshl_or_b32 v4, v22, 16, v4
	global_store_dword v[20:21], v32, off
	v_and_or_b32 v11, 0xffe, v25, v11
	v_cndmask_b32_e64 v24, 0, 1, vcc_lo
	v_sub_nc_u32_e32 v25, 0x3f1, v29
	v_lshl_or_b32 v26, v30, 12, v31
	v_cmp_gt_i32_e32 vcc_lo, 1, v30
	v_or_b32_e32 v33, 0x1000, v11
	v_or_b32_e32 v24, v34, v24
	v_med3_i32 v34, v25, 0, 13
	v_add_nc_u32_e32 v28, 0xfffffc10, v29
	v_cmp_gt_i32_e64 s1, 31, v30
	v_cndmask_b32_e32 v22, v26, v24, vcc_lo
	v_mul_f64 v[24:25], v[6:7], s[8:9]
	v_lshrrev_b32_e32 v6, v34, v33
	v_add_co_u32 v26, vcc_lo, v20, s6
	v_add_co_ci_u32_e32 v27, vcc_lo, s3, v21, vcc_lo
	v_lshlrev_b32_e32 v34, v34, v6
	v_and_b32_e32 v7, 7, v22
	v_cvt_f64_f32_e32 v[20:21], v2
	global_store_dword v[26:27], v4, off
	v_lshl_or_b32 v2, v28, 12, v11
	v_cmp_ne_u32_e64 s0, v34, v33
	v_cmp_lt_i32_e32 vcc_lo, 5, v7
	v_cndmask_b32_e64 v4, 0, 1, s0
	v_cmp_eq_u32_e64 s0, 3, v7
	v_lshrrev_b32_e32 v7, 2, v22
	v_or_b32_e32 v4, v6, v4
	s_or_b32 vcc_lo, s0, vcc_lo
	v_and_or_b32 v6, 0x1ff, v25, v24
	v_add_co_ci_u32_e32 v22, vcc_lo, 0, v7, vcc_lo
	v_cmp_gt_i32_e32 vcc_lo, 1, v28
	v_bfe_u32 v24, v25, 20, 11
	v_cndmask_b32_e64 v22, 0x7c00, v22, s1
	v_mul_f64 v[20:21], v[20:21], s[8:9]
	v_cndmask_b32_e32 v2, v2, v4, vcc_lo
	v_cmp_ne_u32_e32 vcc_lo, 0, v6
	v_lshrrev_b32_e32 v6, 8, v25
	v_sub_nc_u32_e32 v32, 0x3f1, v24
	v_add_nc_u32_e32 v24, 0xfffffc10, v24
	v_and_b32_e32 v29, 7, v2
	v_cndmask_b32_e64 v4, 0, 1, vcc_lo
	v_cmp_ne_u32_e32 vcc_lo, 0, v31
	v_lshrrev_b32_e32 v2, 2, v2
	v_med3_i32 v32, v32, 0, 13
	v_cmp_eq_u32_e64 s0, 3, v29
	v_and_or_b32 v4, 0xffe, v6, v4
	ds_read2_b32 v[6:7], v13 offset0:114 offset1:169
	v_cndmask_b32_e64 v31, 0, 1, vcc_lo
	v_cmp_lt_i32_e32 vcc_lo, 5, v29
	v_or_b32_e32 v29, 0x1000, v4
	v_lshl_or_b32 v31, v31, 9, 0x7c00
	s_or_b32 vcc_lo, s0, vcc_lo
	v_add_co_ci_u32_e32 v2, vcc_lo, 0, v2, vcc_lo
	v_cmp_eq_u32_e32 vcc_lo, 0x40f, v30
	v_lshrrev_b32_e32 v33, v32, v29
	v_and_or_b32 v20, 0x1ff, v21, v20
	v_bfe_u32 v34, v21, 20, 11
	v_cndmask_b32_e32 v30, v22, v31, vcc_lo
	v_cmp_gt_i32_e32 vcc_lo, 31, v28
	v_lshlrev_b32_e32 v22, v32, v33
	v_lshrrev_b32_e32 v31, 16, v23
	s_waitcnt lgkmcnt(0)
	v_lshrrev_b32_e32 v32, 16, v6
	v_cndmask_b32_e32 v2, 0x7c00, v2, vcc_lo
	v_cmp_ne_u32_e32 vcc_lo, 0, v11
	v_and_or_b32 v30, 0x8000, v31, v30
	v_mul_f16_sdwa v23, v168, v32 dst_sel:DWORD dst_unused:UNUSED_PAD src0_sel:WORD_1 src1_sel:DWORD
	v_cndmask_b32_e64 v11, 0, 1, vcc_lo
	v_cmp_ne_u32_e32 vcc_lo, v22, v29
	v_fmac_f16_e32 v23, v168, v6
	v_lshl_or_b32 v29, v24, 12, v4
	v_mul_f16_sdwa v6, v168, v6 dst_sel:DWORD dst_unused:UNUSED_PAD src0_sel:WORD_1 src1_sel:DWORD
	v_lshl_or_b32 v11, v11, 9, 0x7c00
	v_cndmask_b32_e64 v22, 0, 1, vcc_lo
	v_cmp_ne_u32_e32 vcc_lo, 0, v20
	v_cvt_f32_f16_e32 v23, v23
	v_fma_f16 v6, v168, v32, -v6
	v_add_nc_u32_e32 v32, 0xfffffc10, v34
	v_or_b32_e32 v22, v33, v22
	v_cndmask_b32_e64 v20, 0, 1, vcc_lo
	v_cmp_gt_i32_e32 vcc_lo, 1, v24
	v_lshrrev_b32_e32 v33, 8, v21
	v_cvt_f32_f16_e32 v6, v6
	v_and_b32_e32 v30, 0xffff, v30
	v_cndmask_b32_e32 v29, v29, v22, vcc_lo
	v_cvt_f64_f32_e32 v[22:23], v23
	v_and_or_b32 v20, 0xffe, v33, v20
	v_sub_nc_u32_e32 v33, 0x3f1, v34
	v_cmp_eq_u32_e32 vcc_lo, 0x40f, v28
	v_or_b32_e32 v28, 0x1000, v20
	v_med3_i32 v33, v33, 0, 13
	v_cndmask_b32_e32 v2, v2, v11, vcc_lo
	v_lshrrev_b32_e32 v11, 16, v12
	v_and_b32_e32 v12, 7, v29
	v_lshrrev_b32_e32 v31, v33, v28
	v_and_or_b32 v2, 0x8000, v11, v2
	v_cmp_lt_i32_e32 vcc_lo, 5, v12
	v_cmp_eq_u32_e64 s0, 3, v12
	v_lshrrev_b32_e32 v11, 2, v29
	v_lshlrev_b32_e32 v12, v33, v31
	v_lshl_or_b32 v2, v2, 16, v30
	s_or_b32 vcc_lo, s0, vcc_lo
	v_add_co_ci_u32_e32 v29, vcc_lo, 0, v11, vcc_lo
	v_cmp_ne_u32_e32 vcc_lo, v12, v28
	v_mul_f64 v[11:12], v[22:23], s[8:9]
	v_cvt_f64_f32_e32 v[22:23], v6
	v_cndmask_b32_e64 v28, 0, 1, vcc_lo
	v_cmp_ne_u32_e32 vcc_lo, 0, v4
	v_or_b32_e32 v6, v31, v28
	v_cndmask_b32_e64 v4, 0, 1, vcc_lo
	v_cmp_gt_i32_e32 vcc_lo, 31, v24
	v_lshl_or_b32 v28, v32, 12, v20
	v_lshl_or_b32 v4, v4, 9, 0x7c00
	v_cndmask_b32_e32 v29, 0x7c00, v29, vcc_lo
	v_cmp_gt_i32_e32 vcc_lo, 1, v32
	v_cndmask_b32_e32 v6, v28, v6, vcc_lo
	v_cmp_eq_u32_e32 vcc_lo, 0x40f, v24
	v_and_or_b32 v11, 0x1ff, v12, v11
	v_mul_f64 v[22:23], v[22:23], s[8:9]
	v_lshrrev_b32_e32 v28, 16, v25
	v_cndmask_b32_e32 v4, v29, v4, vcc_lo
	v_and_b32_e32 v29, 7, v6
	v_add_co_u32 v24, vcc_lo, v26, s6
	v_cmp_ne_u32_e64 s1, 0, v11
	v_add_co_ci_u32_e32 v25, vcc_lo, s3, v27, vcc_lo
	v_cmp_lt_i32_e32 vcc_lo, 5, v29
	v_cmp_eq_u32_e64 s0, 3, v29
	v_lshrrev_b32_e32 v6, 2, v6
	v_cndmask_b32_e64 v11, 0, 1, s1
	v_lshrrev_b32_e32 v26, 8, v12
	v_bfe_u32 v27, v12, 20, 11
	s_or_b32 vcc_lo, s0, vcc_lo
	v_and_or_b32 v4, 0x8000, v28, v4
	v_add_co_ci_u32_e32 v6, vcc_lo, 0, v6, vcc_lo
	v_and_or_b32 v11, 0xffe, v26, v11
	v_sub_nc_u32_e32 v26, 0x3f1, v27
	v_cmp_ne_u32_e32 vcc_lo, 0, v20
	v_lshrrev_b32_e32 v28, 16, v9
	v_and_or_b32 v22, 0x1ff, v23, v22
	v_or_b32_e32 v29, 0x1000, v11
	v_med3_i32 v26, v26, 0, 13
	v_cndmask_b32_e64 v20, 0, 1, vcc_lo
	v_cmp_gt_i32_e32 vcc_lo, 31, v32
	v_mul_f16_sdwa v30, v167, v28 dst_sel:DWORD dst_unused:UNUSED_PAD src0_sel:WORD_1 src1_sel:DWORD
	v_bfe_u32 v33, v23, 20, 11
	v_lshrrev_b32_e32 v31, v26, v29
	v_lshl_or_b32 v20, v20, 9, 0x7c00
	v_cndmask_b32_e32 v6, 0x7c00, v6, vcc_lo
	v_cmp_eq_u32_e32 vcc_lo, 0x40f, v32
	v_fmac_f16_e32 v30, v167, v9
	v_lshlrev_b32_e32 v26, v26, v31
	v_mul_f16_sdwa v9, v167, v9 dst_sel:DWORD dst_unused:UNUSED_PAD src0_sel:WORD_1 src1_sel:DWORD
	v_lshrrev_b32_e32 v32, 16, v21
	v_cndmask_b32_e32 v6, v6, v20, vcc_lo
	v_cmp_ne_u32_e32 vcc_lo, 0, v22
	v_cvt_f32_f16_e32 v20, v30
	v_fma_f16 v9, v167, v28, -v9
	v_lshrrev_b32_e32 v30, 8, v23
	v_and_or_b32 v6, 0x8000, v32, v6
	v_cndmask_b32_e64 v22, 0, 1, vcc_lo
	v_cmp_ne_u32_e32 vcc_lo, v26, v29
	v_cvt_f64_f32_e32 v[20:21], v20
	v_add_nc_u32_e32 v29, 0xfffffc10, v27
	v_sub_nc_u32_e32 v27, 0x3f1, v33
	v_cvt_f32_f16_e32 v9, v9
	v_cndmask_b32_e64 v26, 0, 1, vcc_lo
	v_and_or_b32 v22, 0xffe, v30, v22
	v_lshl_or_b32 v28, v29, 12, v11
	v_cmp_gt_i32_e32 vcc_lo, 1, v29
	v_and_b32_e32 v4, 0xffff, v4
	v_or_b32_e32 v26, v31, v26
	v_med3_i32 v31, v27, 0, 13
	v_or_b32_e32 v30, 0x1000, v22
	global_store_dword v[24:25], v2, off
	v_lshl_or_b32 v4, v6, 16, v4
	v_cndmask_b32_e32 v28, v28, v26, vcc_lo
	v_cvt_f64_f32_e32 v[26:27], v9
	v_lshrrev_b32_e32 v32, v31, v30
	v_and_b32_e32 v9, 7, v28
	v_lshrrev_b32_e32 v6, 2, v28
	v_lshlrev_b32_e32 v2, v31, v32
	v_mul_f64 v[20:21], v[20:21], s[8:9]
	v_cmp_lt_i32_e32 vcc_lo, 5, v9
	v_cmp_eq_u32_e64 s0, 3, v9
	v_cmp_ne_u32_e64 s1, v2, v30
	v_add_nc_u32_e32 v9, 0xfffffc10, v33
	s_or_b32 vcc_lo, s0, vcc_lo
	v_cndmask_b32_e64 v2, 0, 1, s1
	v_add_co_ci_u32_e32 v6, vcc_lo, 0, v6, vcc_lo
	v_cmp_ne_u32_e32 vcc_lo, 0, v11
	v_lshl_or_b32 v28, v9, 12, v22
	v_or_b32_e32 v2, v32, v2
	v_mul_f64 v[26:27], v[26:27], s[8:9]
	v_cndmask_b32_e64 v11, 0, 1, vcc_lo
	v_cmp_gt_i32_e32 vcc_lo, 31, v29
	v_lshl_or_b32 v11, v11, 9, 0x7c00
	v_cndmask_b32_e32 v6, 0x7c00, v6, vcc_lo
	v_cmp_gt_i32_e32 vcc_lo, 1, v9
	v_and_or_b32 v20, 0x1ff, v21, v20
	v_cndmask_b32_e32 v2, v28, v2, vcc_lo
	v_cmp_eq_u32_e32 vcc_lo, 0x40f, v29
	v_bfe_u32 v29, v21, 20, 11
	v_and_b32_e32 v28, 7, v2
	v_cndmask_b32_e32 v6, v6, v11, vcc_lo
	v_cmp_ne_u32_e32 vcc_lo, 0, v20
	v_lshrrev_b32_e32 v11, 16, v12
	v_lshrrev_b32_e32 v20, 8, v21
	v_and_or_b32 v26, 0x1ff, v27, v26
	v_sub_nc_u32_e32 v30, 0x3f1, v29
	v_cndmask_b32_e64 v12, 0, 1, vcc_lo
	v_add_co_u32 v24, vcc_lo, v24, s6
	v_cmp_ne_u32_e64 s1, 0, v26
	v_add_co_ci_u32_e32 v25, vcc_lo, s3, v25, vcc_lo
	v_and_or_b32 v20, 0xffe, v20, v12
	v_and_or_b32 v6, 0x8000, v11, v6
	v_cmp_lt_i32_e32 vcc_lo, 5, v28
	ds_read2_b32 v[11:12], v15 offset0:74 offset1:129
	v_cmp_eq_u32_e64 s0, 3, v28
	v_lshrrev_b32_e32 v2, 2, v2
	v_or_b32_e32 v28, 0x1000, v20
	v_med3_i32 v30, v30, 0, 13
	v_cndmask_b32_e64 v26, 0, 1, s1
	v_lshrrev_b32_e32 v31, 8, v27
	v_bfe_u32 v32, v27, 20, 11
	s_or_b32 vcc_lo, s0, vcc_lo
	v_lshrrev_b32_e32 v33, v30, v28
	v_add_co_ci_u32_e32 v2, vcc_lo, 0, v2, vcc_lo
	v_and_or_b32 v26, 0xffe, v31, v26
	v_sub_nc_u32_e32 v31, 0x3f1, v32
	v_cmp_ne_u32_e32 vcc_lo, 0, v22
	v_lshlrev_b32_e32 v30, v30, v33
	v_add_nc_u32_e32 v32, 0xfffffc10, v32
	v_or_b32_e32 v35, 0x1000, v26
	v_med3_i32 v31, v31, 0, 13
	v_cndmask_b32_e64 v22, 0, 1, vcc_lo
	v_cmp_gt_i32_e32 vcc_lo, 31, v9
	s_waitcnt lgkmcnt(0)
	v_lshrrev_b32_e32 v34, 16, v11
	global_store_dword v[24:25], v4, off
	v_lshrrev_b32_e32 v37, v31, v35
	v_lshl_or_b32 v22, v22, 9, 0x7c00
	v_cndmask_b32_e32 v2, 0x7c00, v2, vcc_lo
	v_cmp_ne_u32_e32 vcc_lo, v30, v28
	v_mul_f16_sdwa v36, v166, v34 dst_sel:DWORD dst_unused:UNUSED_PAD src0_sel:WORD_1 src1_sel:DWORD
	v_lshrrev_b32_e32 v30, 16, v23
	v_and_b32_e32 v6, 0xffff, v6
	v_lshrrev_b32_e32 v27, 16, v27
	v_cndmask_b32_e64 v28, 0, 1, vcc_lo
	v_cmp_eq_u32_e32 vcc_lo, 0x40f, v9
	v_lshlrev_b32_e32 v9, v31, v37
	v_add_nc_u32_e32 v31, 0xfffffc10, v29
	v_fmac_f16_e32 v36, v166, v11
	v_or_b32_e32 v28, v33, v28
	v_cndmask_b32_e32 v2, v2, v22, vcc_lo
	v_cmp_ne_u32_e32 vcc_lo, v9, v35
	v_lshl_or_b32 v29, v31, 12, v20
	v_cvt_f32_f16_e32 v22, v36
	v_mul_f16_sdwa v11, v166, v11 dst_sel:DWORD dst_unused:UNUSED_PAD src0_sel:WORD_1 src1_sel:DWORD
	v_and_or_b32 v2, 0x8000, v30, v2
	v_cndmask_b32_e64 v9, 0, 1, vcc_lo
	v_cmp_gt_i32_e32 vcc_lo, 1, v31
	v_cvt_f64_f32_e32 v[22:23], v22
	v_lshl_or_b32 v30, v32, 12, v26
	v_fma_f16 v4, v166, v34, -v11
	v_or_b32_e32 v9, v37, v9
	v_cndmask_b32_e32 v28, v29, v28, vcc_lo
	v_cmp_gt_i32_e32 vcc_lo, 1, v32
	v_lshl_or_b32 v2, v2, 16, v6
	v_cvt_f32_f16_e32 v4, v4
	v_and_b32_e32 v29, 7, v28
	v_cndmask_b32_e32 v9, v30, v9, vcc_lo
	v_lshrrev_b32_e32 v11, 2, v28
	v_cmp_lt_i32_e32 vcc_lo, 5, v29
	v_cmp_eq_u32_e64 s0, 3, v29
	v_and_b32_e32 v6, 7, v9
	v_cvt_f64_f32_e32 v[28:29], v4
	s_or_b32 vcc_lo, s0, vcc_lo
	v_cmp_lt_i32_e64 s1, 5, v6
	v_add_co_ci_u32_e32 v4, vcc_lo, 0, v11, vcc_lo
	v_cmp_eq_u32_e64 s2, 3, v6
	v_cmp_ne_u32_e32 vcc_lo, 0, v20
	v_lshrrev_b32_e32 v6, 2, v9
	v_mul_f64 v[22:23], v[22:23], s[8:9]
	s_mul_hi_u32 s0, s4, 0xffffe714
	v_cndmask_b32_e64 v9, 0, 1, vcc_lo
	s_or_b32 vcc_lo, s2, s1
	s_mul_i32 s1, s5, 0xffffe714
	v_add_co_ci_u32_e32 v6, vcc_lo, 0, v6, vcc_lo
	v_cmp_ne_u32_e32 vcc_lo, 0, v26
	v_lshl_or_b32 v9, v9, 9, 0x7c00
	s_sub_i32 s2, s0, s4
	s_mulk_i32 s4, 0xe714
	s_add_i32 s2, s2, s1
	v_cndmask_b32_e64 v11, 0, 1, vcc_lo
	v_cmp_gt_i32_e32 vcc_lo, 31, v31
	v_lshl_or_b32 v11, v11, 9, 0x7c00
	v_cndmask_b32_e32 v4, 0x7c00, v4, vcc_lo
	v_cmp_gt_i32_e32 vcc_lo, 31, v32
	v_and_or_b32 v22, 0x1ff, v23, v22
	v_lshrrev_b32_e32 v26, 8, v23
	v_cndmask_b32_e32 v6, 0x7c00, v6, vcc_lo
	v_cmp_eq_u32_e32 vcc_lo, 0x40f, v31
	v_cndmask_b32_e32 v4, v4, v9, vcc_lo
	v_cmp_eq_u32_e32 vcc_lo, 0x40f, v32
	v_lshrrev_b32_e32 v9, 16, v21
	v_mul_f64 v[20:21], v[28:29], s[8:9]
	v_bfe_u32 v28, v23, 20, 11
	v_cndmask_b32_e32 v6, v6, v11, vcc_lo
	v_cmp_ne_u32_e32 vcc_lo, 0, v22
	v_lshrrev_b32_e32 v11, 16, v5
	v_and_or_b32 v4, 0x8000, v9, v4
	v_and_or_b32 v6, 0x8000, v27, v6
	v_cndmask_b32_e64 v22, 0, 1, vcc_lo
	v_mul_f16_sdwa v29, v165, v11 dst_sel:DWORD dst_unused:UNUSED_PAD src0_sel:WORD_1 src1_sel:DWORD
	v_and_b32_e32 v4, 0xffff, v4
	v_add_co_u32 v24, vcc_lo, v24, s6
	v_and_or_b32 v9, 0xffe, v26, v22
	v_sub_nc_u32_e32 v22, 0x3f1, v28
	v_fmac_f16_e32 v29, v165, v5
	v_lshl_or_b32 v4, v6, 16, v4
	v_add_co_ci_u32_e32 v25, vcc_lo, s3, v25, vcc_lo
	v_or_b32_e32 v30, 0x1000, v9
	v_med3_i32 v22, v22, 0, 13
	v_cvt_f32_f16_e32 v26, v29
	v_and_or_b32 v20, 0x1ff, v21, v20
	v_lshrrev_b32_e32 v29, 8, v21
	v_bfe_u32 v31, v21, 20, 11
	v_lshrrev_b32_e32 v6, v22, v30
	v_cvt_f64_f32_e32 v[26:27], v26
	v_cmp_ne_u32_e32 vcc_lo, 0, v20
	v_mul_f16_sdwa v5, v165, v5 dst_sel:DWORD dst_unused:UNUSED_PAD src0_sel:WORD_1 src1_sel:DWORD
	global_store_dword v[24:25], v2, off
	v_lshlrev_b32_e32 v22, v22, v6
	v_cndmask_b32_e64 v20, 0, 1, vcc_lo
	v_fma_f16 v2, v165, v11, -v5
	v_add_nc_u32_e32 v11, 0xfffffc10, v31
	v_cmp_ne_u32_e32 vcc_lo, v22, v30
	v_add_nc_u32_e32 v30, 0xfffffc10, v28
	v_and_or_b32 v32, 0xffe, v29, v20
	v_sub_nc_u32_e32 v20, 0x3f1, v31
	v_cvt_f32_f16_e32 v2, v2
	v_cndmask_b32_e64 v22, 0, 1, vcc_lo
	v_cmp_gt_i32_e32 vcc_lo, 1, v30
	v_or_b32_e32 v33, 0x1000, v32
	v_med3_i32 v20, v20, 0, 13
	v_cmp_gt_i32_e64 s1, 31, v30
	v_or_b32_e32 v6, v6, v22
	v_lshl_or_b32 v22, v30, 12, v9
	v_mul_f64 v[26:27], v[26:27], s[8:9]
	v_cndmask_b32_e32 v6, v22, v6, vcc_lo
	v_lshrrev_b32_e32 v22, v20, v33
	v_add_co_u32 v28, vcc_lo, v24, s4
	v_add_co_ci_u32_e32 v29, vcc_lo, s2, v25, vcc_lo
	v_lshlrev_b32_e32 v20, v20, v22
	v_and_b32_e32 v34, 7, v6
	v_lshrrev_b32_e32 v5, 2, v6
	global_store_dword v[28:29], v4, off
	v_cvt_f64_f32_e32 v[24:25], v2
	v_cmp_ne_u32_e64 s0, v20, v33
	v_cmp_lt_i32_e32 vcc_lo, 5, v34
	v_lshl_or_b32 v2, v11, 12, v32
	v_cndmask_b32_e64 v4, 0, 1, s0
	v_cmp_eq_u32_e64 s0, 3, v34
	v_and_or_b32 v6, 0x1ff, v27, v26
	v_bfe_u32 v26, v27, 20, 11
	v_or_b32_e32 v4, v22, v4
	s_or_b32 vcc_lo, s0, vcc_lo
	v_add_co_ci_u32_e32 v22, vcc_lo, 0, v5, vcc_lo
	v_cmp_gt_i32_e32 vcc_lo, 1, v11
	v_lshrrev_b32_e32 v5, 8, v27
	v_cndmask_b32_e64 v22, 0x7c00, v22, s1
	v_cndmask_b32_e32 v2, v2, v4, vcc_lo
	v_cmp_ne_u32_e32 vcc_lo, 0, v6
	v_and_b32_e32 v20, 7, v2
	v_cndmask_b32_e64 v4, 0, 1, vcc_lo
	v_cmp_ne_u32_e32 vcc_lo, 0, v9
	v_lshrrev_b32_e32 v2, 2, v2
	v_cmp_eq_u32_e64 s0, 3, v20
	v_and_or_b32 v31, 0xffe, v5, v4
	ds_read2_b32 v[5:6], v19 offset0:112 offset1:167
	v_cndmask_b32_e64 v9, 0, 1, vcc_lo
	v_cmp_lt_i32_e32 vcc_lo, 5, v20
	v_mul_f64 v[19:20], v[24:25], s[8:9]
	v_sub_nc_u32_e32 v4, 0x3f1, v26
	v_or_b32_e32 v33, 0x1000, v31
	v_lshl_or_b32 v9, v9, 9, 0x7c00
	s_or_b32 vcc_lo, s0, vcc_lo
	v_lshrrev_b32_e32 v25, 16, v23
	v_add_co_ci_u32_e32 v2, vcc_lo, 0, v2, vcc_lo
	v_med3_i32 v4, v4, 0, 13
	v_cmp_eq_u32_e32 vcc_lo, 0x40f, v30
	v_add_nc_u32_e32 v26, 0xfffffc10, v26
	v_lshrrev_b32_e32 v24, v4, v33
	v_cndmask_b32_e32 v9, v22, v9, vcc_lo
	v_cmp_gt_i32_e32 vcc_lo, 31, v11
	s_waitcnt lgkmcnt(0)
	v_lshrrev_b32_e32 v30, 16, v5
	v_lshlrev_b32_e32 v4, v4, v24
	v_and_or_b32 v9, 0x8000, v25, v9
	v_cndmask_b32_e32 v2, 0x7c00, v2, vcc_lo
	v_cmp_ne_u32_e32 vcc_lo, 0, v32
	v_mul_f16_sdwa v23, v164, v30 dst_sel:DWORD dst_unused:UNUSED_PAD src0_sel:WORD_1 src1_sel:DWORD
	v_and_or_b32 v19, 0x1ff, v20, v19
	v_and_b32_e32 v9, 0xffff, v9
	v_cndmask_b32_e64 v22, 0, 1, vcc_lo
	v_cmp_ne_u32_e32 vcc_lo, v4, v33
	v_fmac_f16_e32 v23, v164, v5
	v_bfe_u32 v33, v20, 20, 11
	v_mul_f16_sdwa v5, v164, v5 dst_sel:DWORD dst_unused:UNUSED_PAD src0_sel:WORD_1 src1_sel:DWORD
	v_lshl_or_b32 v32, v22, 9, 0x7c00
	v_cndmask_b32_e64 v4, 0, 1, vcc_lo
	v_cmp_ne_u32_e32 vcc_lo, 0, v19
	v_lshl_or_b32 v22, v26, 12, v31
	v_cvt_f32_f16_e32 v23, v23
	v_fma_f16 v5, v164, v30, -v5
	v_or_b32_e32 v4, v24, v4
	v_cndmask_b32_e64 v19, 0, 1, vcc_lo
	v_cmp_gt_i32_e32 vcc_lo, 1, v26
	v_lshrrev_b32_e32 v24, 8, v20
	v_cvt_f32_f16_e32 v25, v5
	v_cndmask_b32_e32 v4, v22, v4, vcc_lo
	v_cvt_f64_f32_e32 v[22:23], v23
	v_and_or_b32 v19, 0xffe, v24, v19
	v_sub_nc_u32_e32 v24, 0x3f1, v33
	v_cmp_eq_u32_e32 vcc_lo, 0x40f, v11
	v_lshrrev_b32_e32 v11, 16, v21
	v_and_b32_e32 v21, 7, v4
	v_lshrrev_b32_e32 v4, 2, v4
	v_med3_i32 v24, v24, 0, 13
	v_cndmask_b32_e32 v2, v2, v32, vcc_lo
	v_or_b32_e32 v32, 0x1000, v19
	v_cmp_lt_i32_e32 vcc_lo, 5, v21
	v_cmp_eq_u32_e64 s0, 3, v21
	v_and_or_b32 v2, 0x8000, v11, v2
	v_lshrrev_b32_e32 v11, v24, v32
	s_or_b32 vcc_lo, s0, vcc_lo
	v_lshl_or_b32 v2, v2, 16, v9
	v_lshlrev_b32_e32 v21, v24, v11
	v_add_co_ci_u32_e32 v24, vcc_lo, 0, v4, vcc_lo
	v_mul_f64 v[4:5], v[22:23], s[8:9]
	v_cmp_ne_u32_e32 vcc_lo, v21, v32
	v_cvt_f64_f32_e32 v[21:22], v25
	v_add_nc_u32_e32 v32, 0xfffffc10, v33
	v_cndmask_b32_e64 v30, 0, 1, vcc_lo
	v_cmp_ne_u32_e32 vcc_lo, 0, v31
	v_lshl_or_b32 v25, v32, 12, v19
	v_lshrrev_b32_e32 v31, 16, v20
	v_or_b32_e32 v11, v11, v30
	v_cndmask_b32_e64 v23, 0, 1, vcc_lo
	v_cmp_gt_i32_e32 vcc_lo, 31, v26
	v_lshl_or_b32 v23, v23, 9, 0x7c00
	v_cndmask_b32_e32 v24, 0x7c00, v24, vcc_lo
	v_cmp_gt_i32_e32 vcc_lo, 1, v32
	v_and_or_b32 v4, 0x1ff, v5, v4
	v_cndmask_b32_e32 v11, v25, v11, vcc_lo
	v_cmp_eq_u32_e32 vcc_lo, 0x40f, v26
	v_mul_f64 v[21:22], v[21:22], s[8:9]
	v_lshrrev_b32_e32 v25, 16, v27
	v_cmp_ne_u32_e64 s1, 0, v4
	v_and_b32_e32 v26, 7, v11
	v_cndmask_b32_e32 v9, v24, v23, vcc_lo
	v_add_co_u32 v23, vcc_lo, v28, s6
	v_add_co_ci_u32_e32 v24, vcc_lo, s3, v29, vcc_lo
	v_cmp_lt_i32_e32 vcc_lo, 5, v26
	v_cmp_eq_u32_e64 s0, 3, v26
	v_lshrrev_b32_e32 v11, 2, v11
	v_and_or_b32 v9, 0x8000, v25, v9
	v_cndmask_b32_e64 v4, 0, 1, s1
	v_lshrrev_b32_e32 v25, 8, v5
	v_bfe_u32 v26, v5, 20, 11
	s_or_b32 vcc_lo, s0, vcc_lo
	v_lshrrev_b32_e32 v27, 16, v8
	v_add_co_ci_u32_e32 v11, vcc_lo, 0, v11, vcc_lo
	v_and_or_b32 v4, 0xffe, v25, v4
	v_sub_nc_u32_e32 v25, 0x3f1, v26
	v_cmp_ne_u32_e32 vcc_lo, 0, v19
	v_mul_f16_sdwa v29, v163, v27 dst_sel:DWORD dst_unused:UNUSED_PAD src0_sel:WORD_1 src1_sel:DWORD
	v_and_or_b32 v21, 0x1ff, v22, v21
	v_or_b32_e32 v28, 0x1000, v4
	v_med3_i32 v25, v25, 0, 13
	v_cndmask_b32_e64 v19, 0, 1, vcc_lo
	v_cmp_gt_i32_e32 vcc_lo, 31, v32
	v_fmac_f16_e32 v29, v163, v8
	v_mul_f16_sdwa v8, v163, v8 dst_sel:DWORD dst_unused:UNUSED_PAD src0_sel:WORD_1 src1_sel:DWORD
	v_lshrrev_b32_e32 v30, v25, v28
	v_lshl_or_b32 v19, v19, 9, 0x7c00
	v_cndmask_b32_e32 v11, 0x7c00, v11, vcc_lo
	v_cmp_eq_u32_e32 vcc_lo, 0x40f, v32
	v_bfe_u32 v32, v22, 20, 11
	v_lshlrev_b32_e32 v25, v25, v30
	v_fma_f16 v8, v163, v27, -v8
	v_and_b32_e32 v9, 0xffff, v9
	v_cndmask_b32_e32 v11, v11, v19, vcc_lo
	v_cmp_ne_u32_e32 vcc_lo, 0, v21
	v_cvt_f32_f16_e32 v19, v29
	v_lshrrev_b32_e32 v29, 8, v22
	global_store_dword v[23:24], v2, off
	v_and_or_b32 v11, 0x8000, v31, v11
	v_cndmask_b32_e64 v21, 0, 1, vcc_lo
	v_cmp_ne_u32_e32 vcc_lo, v25, v28
	v_cvt_f64_f32_e32 v[19:20], v19
	v_add_nc_u32_e32 v28, 0xfffffc10, v26
	v_sub_nc_u32_e32 v26, 0x3f1, v32
	v_and_or_b32 v21, 0xffe, v29, v21
	v_cndmask_b32_e64 v25, 0, 1, vcc_lo
	v_cvt_f32_f16_e32 v2, v8
	v_lshl_or_b32 v29, v28, 12, v4
	v_cmp_gt_i32_e32 vcc_lo, 1, v28
	v_med3_i32 v26, v26, 0, 13
	v_or_b32_e32 v25, v30, v25
	v_or_b32_e32 v30, 0x1000, v21
	v_lshl_or_b32 v11, v11, 16, v9
	v_cvt_f64_f32_e32 v[8:9], v2
	v_lshrrev_b32_e32 v22, 16, v22
	v_cndmask_b32_e32 v25, v29, v25, vcc_lo
	v_lshrrev_b32_e32 v27, v26, v30
	v_add_co_u32 v23, vcc_lo, v23, s6
	v_add_co_ci_u32_e32 v24, vcc_lo, s3, v24, vcc_lo
	v_and_b32_e32 v29, 7, v25
	v_lshlrev_b32_e32 v26, v26, v27
	v_mul_f64 v[19:20], v[19:20], s[8:9]
	v_lshrrev_b32_e32 v2, 2, v25
	global_store_dword v[23:24], v11, off
	v_cmp_lt_i32_e32 vcc_lo, 5, v29
	v_cmp_eq_u32_e64 s0, 3, v29
	v_cmp_ne_u32_e64 s1, v26, v30
	v_add_nc_u32_e32 v29, 0xfffffc10, v32
	s_or_b32 vcc_lo, s0, vcc_lo
	v_cndmask_b32_e64 v25, 0, 1, s1
	v_add_co_ci_u32_e32 v2, vcc_lo, 0, v2, vcc_lo
	v_cmp_gt_i32_e32 vcc_lo, 31, v28
	v_lshl_or_b32 v26, v29, 12, v21
	v_or_b32_e32 v25, v27, v25
	v_cmp_eq_u32_e64 s1, 0x40f, v28
	v_lshrrev_b32_e32 v28, 16, v5
	v_cndmask_b32_e32 v2, 0x7c00, v2, vcc_lo
	v_cmp_gt_i32_e32 vcc_lo, 1, v29
	v_and_or_b32 v19, 0x1ff, v20, v19
	v_lshrrev_b32_e32 v30, 8, v20
	v_cndmask_b32_e32 v11, v26, v25, vcc_lo
	v_mul_f64 v[25:26], v[8:9], s[8:9]
	v_cmp_ne_u32_e32 vcc_lo, 0, v4
	ds_read2_b32 v[8:9], v10 offset0:150 offset1:205
	v_bfe_u32 v10, v20, 20, 11
	v_and_b32_e32 v27, 7, v11
	v_cndmask_b32_e64 v4, 0, 1, vcc_lo
	v_cmp_ne_u32_e32 vcc_lo, 0, v19
	v_add_nc_u32_e32 v34, 0xfffffc10, v10
	v_cmp_eq_u32_e64 s0, 3, v27
	v_lshl_or_b32 v4, v4, 9, 0x7c00
	v_cndmask_b32_e64 v19, 0, 1, vcc_lo
	v_cmp_lt_i32_e32 vcc_lo, 5, v27
	v_sub_nc_u32_e32 v27, 0x3f1, v10
	v_cndmask_b32_e64 v2, v2, v4, s1
	v_lshrrev_b32_e32 v4, 2, v11
	v_and_or_b32 v19, 0xffe, v30, v19
	s_or_b32 vcc_lo, s0, vcc_lo
	v_med3_i32 v27, v27, 0, 13
	v_and_or_b32 v2, 0x8000, v28, v2
	v_add_co_ci_u32_e32 v4, vcc_lo, 0, v4, vcc_lo
	v_or_b32_e32 v11, 0x1000, v19
	v_and_or_b32 v25, 0x1ff, v26, v25
	v_cmp_gt_i32_e32 vcc_lo, 31, v29
	s_waitcnt lgkmcnt(0)
	v_lshrrev_b32_e32 v31, 16, v8
	v_bfe_u32 v33, v26, 20, 11
	v_lshrrev_b32_e32 v5, v27, v11
	v_and_b32_e32 v2, 0xffff, v2
	v_cndmask_b32_e32 v30, 0x7c00, v4, vcc_lo
	v_cmp_ne_u32_e32 vcc_lo, 0, v25
	v_mul_f16_sdwa v32, v162, v31 dst_sel:DWORD dst_unused:UNUSED_PAD src0_sel:WORD_1 src1_sel:DWORD
	v_lshlrev_b32_e32 v4, v27, v5
	v_lshrrev_b32_e32 v27, 8, v26
	v_lshrrev_b32_e32 v26, 16, v26
	v_cndmask_b32_e64 v25, 0, 1, vcc_lo
	v_cmp_ne_u32_e32 vcc_lo, 0, v21
	v_fmac_f16_e32 v32, v162, v8
	v_mul_f16_sdwa v8, v162, v8 dst_sel:DWORD dst_unused:UNUSED_PAD src0_sel:WORD_1 src1_sel:DWORD
	v_and_or_b32 v25, 0xffe, v27, v25
	v_cndmask_b32_e64 v21, 0, 1, vcc_lo
	v_sub_nc_u32_e32 v27, 0x3f1, v33
	v_cmp_ne_u32_e32 vcc_lo, v4, v11
	v_cvt_f32_f16_e32 v10, v32
	v_or_b32_e32 v11, 0x1000, v25
	v_lshl_or_b32 v21, v21, 9, 0x7c00
	v_med3_i32 v27, v27, 0, 13
	v_cndmask_b32_e64 v4, 0, 1, vcc_lo
	v_cmp_eq_u32_e32 vcc_lo, 0x40f, v29
	v_fma_f16 v8, v162, v31, -v8
	v_lshrrev_b32_e32 v29, 16, v7
	v_lshrrev_b32_e32 v35, v27, v11
	v_or_b32_e32 v32, v5, v4
	v_cvt_f64_f32_e32 v[4:5], v10
	v_lshl_or_b32 v10, v34, 12, v19
	v_cndmask_b32_e32 v21, v30, v21, vcc_lo
	v_cmp_gt_i32_e32 vcc_lo, 1, v34
	v_lshlrev_b32_e32 v27, v27, v35
	v_cvt_f32_f16_e32 v8, v8
	v_and_or_b32 v21, 0x8000, v22, v21
	v_cndmask_b32_e32 v10, v10, v32, vcc_lo
	v_cmp_ne_u32_e32 vcc_lo, v27, v11
	v_add_nc_u32_e32 v27, 0xfffffc10, v33
	v_lshl_or_b32 v2, v21, 16, v2
	v_and_b32_e32 v22, 7, v10
	v_cndmask_b32_e64 v11, 0, 1, vcc_lo
	v_cmp_gt_i32_e64 s1, 1, v27
	v_lshrrev_b32_e32 v28, 2, v10
	v_cmp_lt_i32_e32 vcc_lo, 5, v22
	v_cmp_eq_u32_e64 s0, 3, v22
	v_or_b32_e32 v11, v35, v11
	v_lshl_or_b32 v22, v27, 12, v25
	v_mul_f64 v[4:5], v[4:5], s[8:9]
	s_or_b32 vcc_lo, s0, vcc_lo
	v_cndmask_b32_e64 v22, v22, v11, s1
	v_cvt_f64_f32_e32 v[10:11], v8
	v_add_co_ci_u32_e32 v8, vcc_lo, 0, v28, vcc_lo
	v_cmp_ne_u32_e32 vcc_lo, 0, v19
	v_and_b32_e32 v28, 7, v22
	v_cmp_eq_u32_e64 s1, 0x40f, v34
	v_cndmask_b32_e64 v19, 0, 1, vcc_lo
	v_cmp_gt_i32_e32 vcc_lo, 31, v34
	v_cmp_eq_u32_e64 s0, 3, v28
	v_lshl_or_b32 v19, v19, 9, 0x7c00
	v_cndmask_b32_e32 v8, 0x7c00, v8, vcc_lo
	v_cmp_lt_i32_e32 vcc_lo, 5, v28
	v_lshrrev_b32_e32 v28, 16, v20
	v_and_or_b32 v4, 0x1ff, v5, v4
	v_bfe_u32 v30, v5, 20, 11
	v_cndmask_b32_e64 v8, v8, v19, s1
	v_lshrrev_b32_e32 v19, 2, v22
	s_or_b32 vcc_lo, s0, vcc_lo
	v_and_or_b32 v8, 0x8000, v28, v8
	v_add_co_ci_u32_e32 v21, vcc_lo, 0, v19, vcc_lo
	v_mul_f64 v[19:20], v[10:11], s[8:9]
	v_cmp_ne_u32_e32 vcc_lo, 0, v4
	v_lshrrev_b32_e32 v10, 8, v5
	v_mul_f16_sdwa v11, v161, v29 dst_sel:DWORD dst_unused:UNUSED_PAD src0_sel:WORD_1 src1_sel:DWORD
	v_and_b32_e32 v8, 0xffff, v8
	v_cndmask_b32_e64 v4, 0, 1, vcc_lo
	v_cmp_ne_u32_e32 vcc_lo, 0, v25
	v_fmac_f16_e32 v11, v161, v7
	v_and_or_b32 v4, 0xffe, v10, v4
	v_sub_nc_u32_e32 v10, 0x3f1, v30
	v_cndmask_b32_e64 v22, 0, 1, vcc_lo
	v_cmp_gt_i32_e32 vcc_lo, 31, v27
	v_or_b32_e32 v25, 0x1000, v4
	v_med3_i32 v31, v10, 0, 13
	v_lshl_or_b32 v22, v22, 9, 0x7c00
	v_cndmask_b32_e32 v21, 0x7c00, v21, vcc_lo
	v_cmp_eq_u32_e32 vcc_lo, 0x40f, v27
	v_cvt_f32_f16_e32 v10, v11
	v_lshrrev_b32_e32 v32, v31, v25
	v_and_or_b32 v19, 0x1ff, v20, v19
	v_cndmask_b32_e32 v27, v21, v22, vcc_lo
	v_add_co_u32 v21, vcc_lo, v23, s6
	v_cvt_f64_f32_e32 v[10:11], v10
	v_add_co_ci_u32_e32 v22, vcc_lo, s3, v24, vcc_lo
	v_lshlrev_b32_e32 v24, v31, v32
	v_cmp_ne_u32_e32 vcc_lo, 0, v19
	v_and_or_b32 v23, 0x8000, v26, v27
	v_lshrrev_b32_e32 v26, 8, v20
	v_bfe_u32 v27, v20, 20, 11
	global_store_dword v[21:22], v2, off
	v_cndmask_b32_e64 v19, 0, 1, vcc_lo
	v_cmp_ne_u32_e32 vcc_lo, v24, v25
	v_add_nc_u32_e32 v25, 0xfffffc10, v30
	v_lshl_or_b32 v31, v23, 16, v8
	v_and_or_b32 v19, 0xffe, v26, v19
	v_cndmask_b32_e64 v24, 0, 1, vcc_lo
	v_sub_nc_u32_e32 v26, 0x3f1, v27
	v_lshl_or_b32 v28, v25, 12, v4
	v_cmp_gt_i32_e32 vcc_lo, 1, v25
	v_or_b32_e32 v30, 0x1000, v19
	v_or_b32_e32 v24, v32, v24
	v_med3_i32 v26, v26, 0, 13
	v_cmp_gt_i32_e64 s1, 31, v25
	v_cndmask_b32_e32 v28, v28, v24, vcc_lo
	v_mul_f64 v[23:24], v[10:11], s[8:9]
	v_lshrrev_b32_e32 v10, v26, v30
	v_mul_f16_sdwa v11, v161, v7 dst_sel:DWORD dst_unused:UNUSED_PAD src0_sel:WORD_1 src1_sel:DWORD
	v_add_co_u32 v7, vcc_lo, v21, s6
	v_and_b32_e32 v32, 7, v28
	v_lshlrev_b32_e32 v26, v26, v10
	v_fma_f16 v2, v161, v29, -v11
	v_add_co_ci_u32_e32 v8, vcc_lo, s3, v22, vcc_lo
	v_cmp_lt_i32_e32 vcc_lo, 5, v32
	v_cmp_ne_u32_e64 s0, v26, v30
	v_cvt_f32_f16_e32 v2, v2
	v_add_nc_u32_e32 v26, 0xfffffc10, v27
	v_lshrrev_b32_e32 v27, 2, v28
	global_store_dword v[7:8], v31, off
	v_cndmask_b32_e64 v11, 0, 1, s0
	v_cmp_eq_u32_e64 s0, 3, v32
	v_cvt_f64_f32_e32 v[21:22], v2
	v_lshl_or_b32 v2, v26, 12, v19
	v_or_b32_e32 v10, v10, v11
	s_or_b32 vcc_lo, s0, vcc_lo
	v_and_or_b32 v11, 0x1ff, v24, v23
	v_add_co_ci_u32_e32 v23, vcc_lo, 0, v27, vcc_lo
	v_cmp_gt_i32_e32 vcc_lo, 1, v26
	v_bfe_u32 v27, v24, 20, 11
	v_cndmask_b32_e64 v23, 0x7c00, v23, s1
	v_cndmask_b32_e32 v2, v2, v10, vcc_lo
	v_cmp_ne_u32_e32 vcc_lo, 0, v11
	v_lshrrev_b32_e32 v11, 8, v24
	v_sub_nc_u32_e32 v30, 0x3f1, v27
	v_add_nc_u32_e32 v27, 0xfffffc10, v27
	v_and_b32_e32 v28, 7, v2
	v_cndmask_b32_e64 v10, 0, 1, vcc_lo
	v_cmp_ne_u32_e32 vcc_lo, 0, v4
	v_lshrrev_b32_e32 v2, 2, v2
	v_mul_f64 v[21:22], v[21:22], s[8:9]
	v_cmp_eq_u32_e64 s0, 3, v28
	v_and_or_b32 v29, 0xffe, v11, v10
	v_cndmask_b32_e64 v4, 0, 1, vcc_lo
	v_cmp_lt_i32_e32 vcc_lo, 5, v28
	ds_read2_b32 v[10:11], v139 offset0:110 offset1:165
	v_med3_i32 v30, v30, 0, 13
	v_or_b32_e32 v28, 0x1000, v29
	v_lshl_or_b32 v4, v4, 9, 0x7c00
	s_or_b32 vcc_lo, s0, vcc_lo
	v_add_co_ci_u32_e32 v2, vcc_lo, 0, v2, vcc_lo
	v_cmp_eq_u32_e32 vcc_lo, 0x40f, v25
	v_lshrrev_b32_e32 v31, v30, v28
	v_lshrrev_b32_e32 v25, 16, v5
	v_cndmask_b32_e32 v23, v23, v4, vcc_lo
	v_cmp_gt_i32_e32 vcc_lo, 31, v26
	v_lshlrev_b32_e32 v4, v30, v31
	v_and_or_b32 v21, 0x1ff, v22, v21
	v_bfe_u32 v32, v22, 20, 11
	v_cndmask_b32_e32 v2, 0x7c00, v2, vcc_lo
	v_cmp_ne_u32_e32 vcc_lo, 0, v19
	s_waitcnt lgkmcnt(0)
	v_lshrrev_b32_e32 v30, 16, v10
	v_and_or_b32 v23, 0x8000, v25, v23
	v_cndmask_b32_e64 v5, 0, 1, vcc_lo
	v_cmp_ne_u32_e32 vcc_lo, v4, v28
	v_mul_f16_sdwa v19, v160, v30 dst_sel:DWORD dst_unused:UNUSED_PAD src0_sel:WORD_1 src1_sel:DWORD
	v_and_b32_e32 v23, 0xffff, v23
	v_lshl_or_b32 v28, v5, 9, 0x7c00
	v_cndmask_b32_e64 v4, 0, 1, vcc_lo
	v_cmp_ne_u32_e32 vcc_lo, 0, v21
	v_fmac_f16_e32 v19, v160, v10
	v_lshl_or_b32 v5, v27, 12, v29
	v_mul_f16_sdwa v10, v160, v10 dst_sel:DWORD dst_unused:UNUSED_PAD src0_sel:WORD_1 src1_sel:DWORD
	v_or_b32_e32 v4, v31, v4
	v_cndmask_b32_e64 v21, 0, 1, vcc_lo
	v_lshrrev_b32_e32 v31, 8, v22
	v_cmp_gt_i32_e32 vcc_lo, 1, v27
	v_cvt_f32_f16_e32 v19, v19
	v_fma_f16 v10, v160, v30, -v10
	v_add_nc_u32_e32 v30, 0xfffffc10, v32
	v_and_or_b32 v21, 0xffe, v31, v21
	v_cndmask_b32_e32 v33, v5, v4, vcc_lo
	v_sub_nc_u32_e32 v31, 0x3f1, v32
	v_cmp_eq_u32_e32 vcc_lo, 0x40f, v26
	v_cvt_f64_f32_e32 v[4:5], v19
	v_or_b32_e32 v26, 0x1000, v21
	v_lshrrev_b32_e32 v19, 16, v20
	v_and_b32_e32 v20, 7, v33
	v_cndmask_b32_e32 v2, v2, v28, vcc_lo
	v_med3_i32 v28, v31, 0, 13
	v_cvt_f32_f16_e32 v10, v10
	v_lshrrev_b32_e32 v22, 16, v22
	v_cmp_lt_i32_e32 vcc_lo, 5, v20
	v_cmp_eq_u32_e64 s0, 3, v20
	v_lshrrev_b32_e32 v25, v28, v26
	v_and_or_b32 v2, 0x8000, v19, v2
	v_lshrrev_b32_e32 v19, 2, v33
	s_or_b32 vcc_lo, s0, vcc_lo
	v_lshlrev_b32_e32 v20, v28, v25
	v_lshl_or_b32 v2, v2, 16, v23
	v_add_co_ci_u32_e32 v28, vcc_lo, 0, v19, vcc_lo
	v_lshrrev_b32_e32 v23, 16, v24
	v_cmp_ne_u32_e32 vcc_lo, v20, v26
	v_mul_f64 v[19:20], v[4:5], s[8:9]
	v_cvt_f64_f32_e32 v[4:5], v10
	v_cndmask_b32_e64 v26, 0, 1, vcc_lo
	v_cmp_ne_u32_e32 vcc_lo, 0, v29
	v_or_b32_e32 v25, v25, v26
	v_cndmask_b32_e64 v10, 0, 1, vcc_lo
	v_cmp_gt_i32_e32 vcc_lo, 31, v27
	v_lshl_or_b32 v26, v30, 12, v21
	v_lshl_or_b32 v10, v10, 9, 0x7c00
	v_cndmask_b32_e32 v28, 0x7c00, v28, vcc_lo
	v_cmp_gt_i32_e32 vcc_lo, 1, v30
	v_cndmask_b32_e32 v25, v26, v25, vcc_lo
	v_cmp_eq_u32_e32 vcc_lo, 0x40f, v27
	v_and_or_b32 v19, 0x1ff, v20, v19
	v_and_b32_e32 v26, 7, v25
	v_cndmask_b32_e32 v10, v28, v10, vcc_lo
	v_add_co_u32 v7, vcc_lo, v7, s6
	v_add_co_ci_u32_e32 v8, vcc_lo, s3, v8, vcc_lo
	v_and_or_b32 v10, 0x8000, v23, v10
	v_mul_f64 v[23:24], v[4:5], s[8:9]
	v_cmp_ne_u32_e64 s1, 0, v19
	v_cmp_lt_i32_e32 vcc_lo, 5, v26
	v_cmp_eq_u32_e64 s0, 3, v26
	v_lshrrev_b32_e32 v4, 2, v25
	v_lshrrev_b32_e32 v19, 8, v20
	v_cndmask_b32_e64 v5, 0, 1, s1
	v_bfe_u32 v25, v20, 20, 11
	s_or_b32 vcc_lo, s0, vcc_lo
	v_lshrrev_b32_e32 v26, 16, v12
	v_add_co_ci_u32_e32 v4, vcc_lo, 0, v4, vcc_lo
	v_cmp_ne_u32_e32 vcc_lo, 0, v21
	v_and_or_b32 v19, 0xffe, v19, v5
	v_sub_nc_u32_e32 v5, 0x3f1, v25
	v_mul_f16_sdwa v28, v159, v26 dst_sel:DWORD dst_unused:UNUSED_PAD src0_sel:WORD_1 src1_sel:DWORD
	v_and_b32_e32 v10, 0xffff, v10
	v_cndmask_b32_e64 v21, 0, 1, vcc_lo
	v_cmp_gt_i32_e32 vcc_lo, 31, v30
	v_or_b32_e32 v27, 0x1000, v19
	v_med3_i32 v5, v5, 0, 13
	v_fmac_f16_e32 v28, v159, v12
	v_lshl_or_b32 v21, v21, 9, 0x7c00
	v_cndmask_b32_e32 v4, 0x7c00, v4, vcc_lo
	v_cmp_eq_u32_e32 vcc_lo, 0x40f, v30
	v_lshrrev_b32_e32 v29, v5, v27
	v_and_or_b32 v23, 0x1ff, v24, v23
	v_bfe_u32 v31, v24, 20, 11
	v_mul_f16_sdwa v12, v159, v12 dst_sel:DWORD dst_unused:UNUSED_PAD src0_sel:WORD_1 src1_sel:DWORD
	v_cndmask_b32_e32 v21, v4, v21, vcc_lo
	v_cvt_f32_f16_e32 v4, v28
	v_lshlrev_b32_e32 v30, v5, v29
	v_cmp_ne_u32_e32 vcc_lo, 0, v23
	v_lshrrev_b32_e32 v28, 8, v24
	v_and_or_b32 v21, 0x8000, v22, v21
	v_cvt_f64_f32_e32 v[4:5], v4
	v_sub_nc_u32_e32 v22, 0x3f1, v31
	v_cndmask_b32_e64 v23, 0, 1, vcc_lo
	v_cmp_ne_u32_e32 vcc_lo, v30, v27
	v_add_nc_u32_e32 v30, 0xfffffc10, v25
	v_fma_f16 v12, v159, v26, -v12
	v_med3_i32 v22, v22, 0, 13
	v_and_or_b32 v23, 0xffe, v28, v23
	v_cndmask_b32_e64 v27, 0, 1, vcc_lo
	v_cmp_gt_i32_e32 vcc_lo, 1, v30
	global_store_dword v[7:8], v2, off
	v_cvt_f32_f16_e32 v2, v12
	v_or_b32_e32 v28, 0x1000, v23
	v_or_b32_e32 v25, v29, v27
	v_lshl_or_b32 v27, v30, 12, v19
	v_lshl_or_b32 v10, v21, 16, v10
	v_lshrrev_b32_e32 v20, 16, v20
	v_lshrrev_b32_e32 v26, v22, v28
	v_cndmask_b32_e32 v25, v27, v25, vcc_lo
	v_add_co_u32 v7, vcc_lo, v7, s6
	v_lshlrev_b32_e32 v27, v22, v26
	v_mul_f64 v[21:22], v[4:5], s[8:9]
	v_and_b32_e32 v12, 7, v25
	v_cvt_f64_f32_e32 v[4:5], v2
	v_add_co_ci_u32_e32 v8, vcc_lo, s3, v8, vcc_lo
	v_lshrrev_b32_e32 v2, 2, v25
	v_cmp_lt_i32_e32 vcc_lo, 5, v12
	v_cmp_eq_u32_e64 s0, 3, v12
	v_cmp_ne_u32_e64 s1, v27, v28
	v_add_nc_u32_e32 v27, 0xfffffc10, v31
	global_store_dword v[7:8], v10, off
	s_or_b32 vcc_lo, s0, vcc_lo
	v_cndmask_b32_e64 v12, 0, 1, s1
	v_add_co_ci_u32_e32 v2, vcc_lo, 0, v2, vcc_lo
	v_cmp_gt_i32_e32 vcc_lo, 31, v30
	v_lshl_or_b32 v25, v27, 12, v23
	v_or_b32_e32 v12, v26, v12
	v_cmp_eq_u32_e64 s1, 0x40f, v30
	v_cndmask_b32_e32 v2, 0x7c00, v2, vcc_lo
	v_cmp_gt_i32_e32 vcc_lo, 1, v27
	v_lshrrev_b32_e32 v28, 8, v22
	v_cndmask_b32_e32 v10, v25, v12, vcc_lo
	v_mul_f64 v[25:26], v[4:5], s[8:9]
	v_and_or_b32 v12, 0x1ff, v22, v21
	v_cmp_ne_u32_e32 vcc_lo, 0, v19
	ds_read2_b32 v[4:5], v18 offset0:148 offset1:203
	v_and_b32_e32 v21, 7, v10
	v_bfe_u32 v18, v22, 20, 11
	v_lshrrev_b32_e32 v10, 2, v10
	v_cndmask_b32_e64 v19, 0, 1, vcc_lo
	v_cmp_ne_u32_e32 vcc_lo, 0, v12
	v_cmp_eq_u32_e64 s0, 3, v21
	v_add_nc_u32_e32 v33, 0xfffffc10, v18
	v_lshl_or_b32 v19, v19, 9, 0x7c00
	v_cndmask_b32_e64 v12, 0, 1, vcc_lo
	v_cmp_lt_i32_e32 vcc_lo, 5, v21
	v_sub_nc_u32_e32 v21, 0x3f1, v18
	v_cndmask_b32_e64 v2, v2, v19, s1
	v_and_or_b32 v12, 0xffe, v28, v12
	s_or_b32 vcc_lo, s0, vcc_lo
	v_med3_i32 v21, v21, 0, 13
	v_add_co_ci_u32_e32 v10, vcc_lo, 0, v10, vcc_lo
	v_or_b32_e32 v19, 0x1000, v12
	v_and_or_b32 v25, 0x1ff, v26, v25
	v_cmp_gt_i32_e32 vcc_lo, 31, v27
	s_waitcnt lgkmcnt(0)
	v_lshrrev_b32_e32 v29, 16, v4
	v_lshrrev_b32_e32 v30, 8, v26
	;; [unrolled: 1-line block ×3, first 2 shown]
	v_bfe_u32 v32, v26, 20, 11
	v_cndmask_b32_e32 v10, 0x7c00, v10, vcc_lo
	v_cmp_ne_u32_e32 vcc_lo, 0, v25
	v_mul_f16_sdwa v31, v158, v29 dst_sel:DWORD dst_unused:UNUSED_PAD src0_sel:WORD_1 src1_sel:DWORD
	v_lshlrev_b32_e32 v21, v21, v28
	v_and_or_b32 v2, 0x8000, v20, v2
	v_cndmask_b32_e64 v25, 0, 1, vcc_lo
	v_cmp_ne_u32_e32 vcc_lo, 0, v23
	v_fmac_f16_e32 v31, v158, v4
	v_mul_f16_sdwa v4, v158, v4 dst_sel:DWORD dst_unused:UNUSED_PAD src0_sel:WORD_1 src1_sel:DWORD
	v_and_b32_e32 v2, 0xffff, v2
	v_and_or_b32 v25, 0xffe, v30, v25
	v_cndmask_b32_e64 v23, 0, 1, vcc_lo
	v_sub_nc_u32_e32 v30, 0x3f1, v32
	v_cmp_ne_u32_e32 vcc_lo, v21, v19
	v_cvt_f32_f16_e32 v18, v31
	v_or_b32_e32 v21, 0x1000, v25
	v_lshl_or_b32 v23, v23, 9, 0x7c00
	v_med3_i32 v30, v30, 0, 13
	v_cndmask_b32_e64 v19, 0, 1, vcc_lo
	v_cmp_eq_u32_e32 vcc_lo, 0x40f, v27
	v_lshl_or_b32 v31, v33, 12, v12
	v_fma_f16 v4, v158, v29, -v4
	v_lshrrev_b32_e32 v34, v30, v21
	v_or_b32_e32 v28, v28, v19
	v_cvt_f64_f32_e32 v[18:19], v18
	v_cndmask_b32_e32 v10, v10, v23, vcc_lo
	v_cmp_gt_i32_e32 vcc_lo, 1, v33
	v_lshlrev_b32_e32 v27, v30, v34
	v_lshrrev_b32_e32 v23, 16, v24
	v_cvt_f32_f16_e32 v4, v4
	v_cndmask_b32_e32 v24, v31, v28, vcc_lo
	v_cmp_ne_u32_e32 vcc_lo, v27, v21
	v_and_or_b32 v10, 0x8000, v23, v10
	v_add_nc_u32_e32 v23, 0xfffffc10, v32
	v_and_b32_e32 v20, 7, v24
	v_cndmask_b32_e64 v21, 0, 1, vcc_lo
	v_lshrrev_b32_e32 v24, 2, v24
	v_cmp_gt_i32_e64 s1, 1, v23
	v_lshl_or_b32 v2, v10, 16, v2
	v_cmp_lt_i32_e32 vcc_lo, 5, v20
	v_cmp_eq_u32_e64 s0, 3, v20
	v_or_b32_e32 v20, v34, v21
	v_lshl_or_b32 v21, v23, 12, v25
	v_mul_f64 v[18:19], v[18:19], s[8:9]
	s_or_b32 vcc_lo, s0, vcc_lo
	v_cndmask_b32_e64 v27, v21, v20, s1
	v_cvt_f64_f32_e32 v[20:21], v4
	v_add_co_ci_u32_e32 v4, vcc_lo, 0, v24, vcc_lo
	v_cmp_ne_u32_e32 vcc_lo, 0, v12
	v_and_b32_e32 v24, 7, v27
	v_lshrrev_b32_e32 v10, 2, v27
	v_cmp_eq_u32_e64 s1, 0x40f, v33
	v_lshrrev_b32_e32 v27, 16, v6
	v_cndmask_b32_e64 v12, 0, 1, vcc_lo
	v_cmp_gt_i32_e32 vcc_lo, 31, v33
	v_cmp_eq_u32_e64 s0, 3, v24
	v_mul_f16_sdwa v28, v157, v27 dst_sel:DWORD dst_unused:UNUSED_PAD src0_sel:WORD_1 src1_sel:DWORD
	v_lshl_or_b32 v12, v12, 9, 0x7c00
	v_cndmask_b32_e32 v4, 0x7c00, v4, vcc_lo
	v_cmp_lt_i32_e32 vcc_lo, 5, v24
	v_fmac_f16_e32 v28, v157, v6
	v_and_or_b32 v18, 0x1ff, v19, v18
	v_cndmask_b32_e64 v4, v4, v12, s1
	s_or_b32 vcc_lo, s0, vcc_lo
	v_lshrrev_b32_e32 v12, 16, v22
	v_mul_f64 v[20:21], v[20:21], s[8:9]
	v_add_co_ci_u32_e32 v10, vcc_lo, 0, v10, vcc_lo
	v_cmp_ne_u32_e32 vcc_lo, 0, v18
	v_lshrrev_b32_e32 v22, 8, v19
	v_bfe_u32 v24, v19, 20, 11
	v_and_or_b32 v4, 0x8000, v12, v4
	v_mul_f16_sdwa v6, v157, v6 dst_sel:DWORD dst_unused:UNUSED_PAD src0_sel:WORD_1 src1_sel:DWORD
	v_cndmask_b32_e64 v18, 0, 1, vcc_lo
	v_cmp_ne_u32_e32 vcc_lo, 0, v25
	v_and_b32_e32 v4, 0xffff, v4
	v_and_or_b32 v18, 0xffe, v22, v18
	v_cndmask_b32_e64 v25, 0, 1, vcc_lo
	v_sub_nc_u32_e32 v22, 0x3f1, v24
	v_cmp_gt_i32_e32 vcc_lo, 31, v23
	v_or_b32_e32 v29, 0x1000, v18
	v_lshl_or_b32 v25, v25, 9, 0x7c00
	v_med3_i32 v30, v22, 0, 13
	v_cndmask_b32_e32 v10, 0x7c00, v10, vcc_lo
	v_cmp_eq_u32_e32 vcc_lo, 0x40f, v23
	v_cvt_f32_f16_e32 v22, v28
	v_and_or_b32 v20, 0x1ff, v21, v20
	v_bfe_u32 v28, v21, 20, 11
	v_cndmask_b32_e32 v10, v10, v25, vcc_lo
	v_lshrrev_b32_e32 v25, 16, v26
	v_lshrrev_b32_e32 v26, v30, v29
	v_add_co_u32 v7, vcc_lo, v7, s4
	v_cvt_f64_f32_e32 v[22:23], v22
	v_add_co_ci_u32_e32 v8, vcc_lo, s2, v8, vcc_lo
	v_lshlrev_b32_e32 v12, v30, v26
	v_cmp_ne_u32_e32 vcc_lo, 0, v20
	v_and_or_b32 v10, 0x8000, v25, v10
	v_lshrrev_b32_e32 v25, 8, v21
	global_store_dword v[7:8], v2, off
	v_fma_f16 v2, v157, v27, -v6
	v_cndmask_b32_e64 v20, 0, 1, vcc_lo
	v_cmp_ne_u32_e32 vcc_lo, v12, v29
	v_add_nc_u32_e32 v29, 0xfffffc10, v24
	v_sub_nc_u32_e32 v24, 0x3f1, v28
	v_lshl_or_b32 v4, v10, 16, v4
	v_and_or_b32 v20, 0xffe, v25, v20
	v_cndmask_b32_e64 v12, 0, 1, vcc_lo
	v_lshl_or_b32 v25, v29, 12, v18
	v_med3_i32 v30, v24, 0, 13
	v_cmp_gt_i32_e32 vcc_lo, 1, v29
	v_cvt_f32_f16_e32 v2, v2
	v_or_b32_e32 v12, v26, v12
	v_or_b32_e32 v26, 0x1000, v20
	v_mul_f64 v[22:23], v[22:23], s[8:9]
	v_add_nc_u32_e32 v6, 0xfffffc10, v28
	v_cmp_gt_i32_e64 s1, 31, v29
	v_cndmask_b32_e32 v10, v25, v12, vcc_lo
	v_lshrrev_b32_e32 v12, v30, v26
	v_add_co_u32 v24, vcc_lo, v7, s6
	v_add_co_ci_u32_e32 v25, vcc_lo, s3, v8, vcc_lo
	v_lshlrev_b32_e32 v30, v30, v12
	v_and_b32_e32 v31, 7, v10
	v_lshrrev_b32_e32 v7, 2, v10
	global_store_dword v[24:25], v4, off
	v_cmp_ne_u32_e64 s0, v30, v26
	v_cmp_lt_i32_e32 vcc_lo, 5, v31
	v_cvt_f64_f32_e32 v[26:27], v2
	v_lshl_or_b32 v2, v6, 12, v20
	v_cndmask_b32_e64 v4, 0, 1, s0
	v_cmp_eq_u32_e64 s0, 3, v31
	v_and_or_b32 v8, 0x1ff, v23, v22
	v_or_b32_e32 v4, v12, v4
	s_or_b32 vcc_lo, s0, vcc_lo
	v_bfe_u32 v12, v23, 20, 11
	v_add_co_ci_u32_e32 v10, vcc_lo, 0, v7, vcc_lo
	v_cmp_gt_i32_e32 vcc_lo, 1, v6
	v_lshrrev_b32_e32 v7, 8, v23
	v_cndmask_b32_e64 v10, 0x7c00, v10, s1
	v_cndmask_b32_e32 v2, v2, v4, vcc_lo
	v_cmp_ne_u32_e32 vcc_lo, 0, v8
	v_and_b32_e32 v22, 7, v2
	v_cndmask_b32_e64 v4, 0, 1, vcc_lo
	v_cmp_ne_u32_e32 vcc_lo, 0, v18
	v_sub_nc_u32_e32 v18, 0x3f1, v12
	v_lshrrev_b32_e32 v2, 2, v2
	v_cmp_eq_u32_e64 s0, 3, v22
	v_and_or_b32 v4, 0xffe, v7, v4
	ds_read2_b32 v[7:8], v17 offset0:186 offset1:241
	v_cndmask_b32_e64 v28, 0, 1, vcc_lo
	v_cmp_lt_i32_e32 vcc_lo, 5, v22
	v_med3_i32 v30, v18, 0, 13
	v_mul_f64 v[17:18], v[26:27], s[8:9]
	v_or_b32_e32 v22, 0x1000, v4
	v_lshl_or_b32 v26, v28, 9, 0x7c00
	s_or_b32 vcc_lo, s0, vcc_lo
	v_add_nc_u32_e32 v12, 0xfffffc10, v12
	v_add_co_ci_u32_e32 v2, vcc_lo, 0, v2, vcc_lo
	v_cmp_eq_u32_e32 vcc_lo, 0x40f, v29
	v_lshrrev_b32_e32 v27, v30, v22
	v_cndmask_b32_e32 v10, v10, v26, vcc_lo
	v_cmp_gt_i32_e32 vcc_lo, 31, v6
	v_lshrrev_b32_e32 v26, 16, v19
	v_lshlrev_b32_e32 v19, v30, v27
	s_waitcnt lgkmcnt(0)
	v_lshrrev_b32_e32 v28, 16, v7
	v_cndmask_b32_e32 v2, 0x7c00, v2, vcc_lo
	v_cmp_ne_u32_e32 vcc_lo, 0, v20
	v_and_or_b32 v10, 0x8000, v26, v10
	v_and_or_b32 v17, 0x1ff, v18, v17
	v_bfe_u32 v30, v18, 20, 11
	v_cndmask_b32_e64 v20, 0, 1, vcc_lo
	v_cmp_ne_u32_e32 vcc_lo, v19, v22
	v_mul_f16_sdwa v22, v156, v28 dst_sel:DWORD dst_unused:UNUSED_PAD src0_sel:WORD_1 src1_sel:DWORD
	v_and_b32_e32 v10, 0xffff, v10
	v_lshl_or_b32 v29, v20, 9, 0x7c00
	v_cndmask_b32_e64 v19, 0, 1, vcc_lo
	v_fmac_f16_e32 v22, v156, v7
	v_cmp_ne_u32_e32 vcc_lo, 0, v17
	v_lshl_or_b32 v20, v12, 12, v4
	v_or_b32_e32 v19, v27, v19
	v_cvt_f32_f16_e32 v22, v22
	v_cndmask_b32_e64 v17, 0, 1, vcc_lo
	v_cmp_gt_i32_e32 vcc_lo, 1, v12
	v_lshrrev_b32_e32 v27, 8, v18
	v_cndmask_b32_e32 v31, v20, v19, vcc_lo
	v_cvt_f64_f32_e32 v[19:20], v22
	v_cmp_eq_u32_e32 vcc_lo, 0x40f, v6
	v_and_or_b32 v17, 0xffe, v27, v17
	v_sub_nc_u32_e32 v27, 0x3f1, v30
	v_lshrrev_b32_e32 v6, 16, v21
	v_and_b32_e32 v21, 7, v31
	v_cndmask_b32_e32 v2, v2, v29, vcc_lo
	v_or_b32_e32 v22, 0x1000, v17
	v_med3_i32 v27, v27, 0, 13
	v_add_nc_u32_e32 v29, 0xfffffc10, v30
	v_cmp_lt_i32_e32 vcc_lo, 5, v21
	v_and_or_b32 v2, 0x8000, v6, v2
	v_mul_f16_sdwa v6, v156, v7 dst_sel:DWORD dst_unused:UNUSED_PAD src0_sel:WORD_1 src1_sel:DWORD
	v_lshrrev_b32_e32 v26, v27, v22
	v_cmp_eq_u32_e64 s0, 3, v21
	v_lshrrev_b32_e32 v7, 2, v31
	v_lshl_or_b32 v2, v2, 16, v10
	v_fma_f16 v6, v156, v28, -v6
	v_lshlrev_b32_e32 v21, v27, v26
	s_or_b32 vcc_lo, s0, vcc_lo
	v_lshrrev_b32_e32 v10, 16, v23
	v_add_co_ci_u32_e32 v27, vcc_lo, 0, v7, vcc_lo
	v_cvt_f32_f16_e32 v28, v6
	v_cmp_ne_u32_e32 vcc_lo, v21, v22
	v_mul_f64 v[6:7], v[19:20], s[8:9]
	v_lshl_or_b32 v22, v29, 12, v17
	v_cvt_f64_f32_e32 v[19:20], v28
	v_cndmask_b32_e64 v21, 0, 1, vcc_lo
	v_cmp_ne_u32_e32 vcc_lo, 0, v4
	v_lshrrev_b32_e32 v28, 16, v18
	v_or_b32_e32 v21, v26, v21
	v_cndmask_b32_e64 v4, 0, 1, vcc_lo
	v_cmp_gt_i32_e32 vcc_lo, 31, v12
	v_lshl_or_b32 v4, v4, 9, 0x7c00
	v_cndmask_b32_e32 v26, 0x7c00, v27, vcc_lo
	v_cmp_gt_i32_e32 vcc_lo, 1, v29
	v_cndmask_b32_e32 v27, v22, v21, vcc_lo
	v_cmp_eq_u32_e32 vcc_lo, 0x40f, v12
	v_and_or_b32 v6, 0x1ff, v7, v6
	v_mul_f64 v[19:20], v[19:20], s[8:9]
	v_bfe_u32 v23, v7, 20, 11
	v_and_b32_e32 v12, 7, v27
	v_cndmask_b32_e32 v4, v26, v4, vcc_lo
	v_add_co_u32 v21, vcc_lo, v24, s6
	v_cmp_ne_u32_e64 s1, 0, v6
	v_add_co_ci_u32_e32 v22, vcc_lo, s3, v25, vcc_lo
	v_cmp_lt_i32_e32 vcc_lo, 5, v12
	v_cmp_eq_u32_e64 s0, 3, v12
	v_and_or_b32 v4, 0x8000, v10, v4
	v_lshrrev_b32_e32 v10, 2, v27
	v_cndmask_b32_e64 v6, 0, 1, s1
	v_lshrrev_b32_e32 v12, 8, v7
	s_or_b32 vcc_lo, s0, vcc_lo
	v_lshrrev_b32_e32 v24, 16, v9
	v_add_co_ci_u32_e32 v10, vcc_lo, 0, v10, vcc_lo
	v_and_or_b32 v6, 0xffe, v12, v6
	v_sub_nc_u32_e32 v12, 0x3f1, v23
	v_cmp_ne_u32_e32 vcc_lo, 0, v17
	v_mul_f16_sdwa v26, v155, v24 dst_sel:DWORD dst_unused:UNUSED_PAD src0_sel:WORD_1 src1_sel:DWORD
	v_and_or_b32 v19, 0x1ff, v20, v19
	v_or_b32_e32 v25, 0x1000, v6
	v_med3_i32 v12, v12, 0, 13
	v_cndmask_b32_e64 v17, 0, 1, vcc_lo
	v_cmp_gt_i32_e32 vcc_lo, 31, v29
	v_fmac_f16_e32 v26, v155, v9
	v_mul_f16_sdwa v9, v155, v9 dst_sel:DWORD dst_unused:UNUSED_PAD src0_sel:WORD_1 src1_sel:DWORD
	v_lshrrev_b32_e32 v27, v12, v25
	v_lshl_or_b32 v17, v17, 9, 0x7c00
	v_cndmask_b32_e32 v10, 0x7c00, v10, vcc_lo
	v_cmp_eq_u32_e32 vcc_lo, 0x40f, v29
	v_bfe_u32 v29, v20, 20, 11
	v_lshlrev_b32_e32 v12, v12, v27
	global_store_dword v[21:22], v2, off
	v_fma_f16 v2, v155, v24, -v9
	v_cndmask_b32_e32 v10, v10, v17, vcc_lo
	v_cmp_ne_u32_e32 vcc_lo, 0, v19
	v_cvt_f32_f16_e32 v17, v26
	v_lshrrev_b32_e32 v26, 8, v20
	v_and_b32_e32 v4, 0xffff, v4
	v_and_or_b32 v10, 0x8000, v28, v10
	v_cndmask_b32_e64 v19, 0, 1, vcc_lo
	v_cmp_ne_u32_e32 vcc_lo, v12, v25
	v_cvt_f64_f32_e32 v[17:18], v17
	v_add_nc_u32_e32 v25, 0xfffffc10, v23
	v_sub_nc_u32_e32 v23, 0x3f1, v29
	v_and_or_b32 v19, 0xffe, v26, v19
	v_cndmask_b32_e64 v12, 0, 1, vcc_lo
	v_cvt_f32_f16_e32 v2, v2
	v_lshl_or_b32 v26, v25, 12, v6
	v_med3_i32 v23, v23, 0, 13
	v_cmp_gt_i32_e32 vcc_lo, 1, v25
	v_or_b32_e32 v12, v27, v12
	v_or_b32_e32 v27, 0x1000, v19
	v_lshl_or_b32 v4, v10, 16, v4
	v_cvt_f64_f32_e32 v[9:10], v2
	v_lshrrev_b32_e32 v20, 16, v20
	v_cndmask_b32_e32 v12, v26, v12, vcc_lo
	v_lshrrev_b32_e32 v26, v23, v27
	v_add_co_u32 v21, vcc_lo, v21, s6
	v_add_co_ci_u32_e32 v22, vcc_lo, s3, v22, vcc_lo
	v_lshlrev_b32_e32 v23, v23, v26
	v_and_b32_e32 v24, 7, v12
	v_mul_f64 v[17:18], v[17:18], s[8:9]
	global_store_dword v[21:22], v4, off
	v_lshrrev_b32_e32 v4, 2, v12
	v_cmp_ne_u32_e64 s0, v23, v27
	v_cmp_lt_i32_e32 vcc_lo, 5, v24
	v_add_nc_u32_e32 v27, 0xfffffc10, v29
	v_cndmask_b32_e64 v2, 0, 1, s0
	v_cmp_eq_u32_e64 s0, 3, v24
	v_lshl_or_b32 v12, v27, 12, v19
	v_mul_f64 v[23:24], v[9:10], s[8:9]
	v_or_b32_e32 v2, v26, v2
	s_or_b32 vcc_lo, s0, vcc_lo
	ds_read2_b32 v[9:10], v16 offset0:96 offset1:151
	v_add_co_ci_u32_e32 v4, vcc_lo, 0, v4, vcc_lo
	v_cmp_ne_u32_e32 vcc_lo, 0, v6
	v_lshrrev_b32_e32 v16, 8, v18
	v_cndmask_b32_e64 v6, 0, 1, vcc_lo
	v_cmp_gt_i32_e32 vcc_lo, 1, v27
	v_bfe_u32 v26, v18, 20, 11
	v_lshl_or_b32 v6, v6, 9, 0x7c00
	v_cndmask_b32_e32 v2, v12, v2, vcc_lo
	v_and_or_b32 v12, 0x1ff, v18, v17
	v_cmp_gt_i32_e32 vcc_lo, 31, v25
	v_and_b32_e32 v17, 7, v2
	v_lshrrev_b32_e32 v2, 2, v2
	v_cndmask_b32_e32 v4, 0x7c00, v4, vcc_lo
	v_cmp_ne_u32_e32 vcc_lo, 0, v12
	v_and_or_b32 v23, 0x1ff, v24, v23
	v_cmp_eq_u32_e64 s0, 3, v17
	v_lshrrev_b32_e32 v29, 8, v24
	v_bfe_u32 v30, v24, 20, 11
	v_cndmask_b32_e64 v12, 0, 1, vcc_lo
	v_cmp_eq_u32_e32 vcc_lo, 0x40f, v25
	s_waitcnt lgkmcnt(0)
	v_lshrrev_b32_e32 v25, 16, v9
	v_and_or_b32 v12, 0xffe, v16, v12
	v_cndmask_b32_e32 v4, v4, v6, vcc_lo
	v_cmp_lt_i32_e32 vcc_lo, 5, v17
	v_sub_nc_u32_e32 v6, 0x3f1, v26
	v_lshrrev_b32_e32 v16, 16, v7
	v_or_b32_e32 v7, 0x1000, v12
	v_mul_f16_sdwa v28, v154, v25 dst_sel:DWORD dst_unused:UNUSED_PAD src0_sel:WORD_1 src1_sel:DWORD
	s_or_b32 vcc_lo, s0, vcc_lo
	v_med3_i32 v6, v6, 0, 13
	v_add_co_ci_u32_e32 v2, vcc_lo, 0, v2, vcc_lo
	v_cmp_ne_u32_e32 vcc_lo, 0, v19
	v_add_nc_u32_e32 v26, 0xfffffc10, v26
	v_lshrrev_b32_e32 v19, v6, v7
	v_fmac_f16_e32 v28, v154, v9
	v_mul_f16_sdwa v9, v154, v9 dst_sel:DWORD dst_unused:UNUSED_PAD src0_sel:WORD_1 src1_sel:DWORD
	v_cndmask_b32_e64 v17, 0, 1, vcc_lo
	v_cmp_gt_i32_e32 vcc_lo, 31, v27
	v_lshlrev_b32_e32 v6, v6, v19
	v_cvt_f32_f16_e32 v28, v28
	v_and_or_b32 v4, 0x8000, v16, v4
	v_lshl_or_b32 v17, v17, 9, 0x7c00
	v_cndmask_b32_e32 v2, 0x7c00, v2, vcc_lo
	v_cmp_ne_u32_e32 vcc_lo, 0, v23
	v_fma_f16 v9, v154, v25, -v9
	v_add_nc_u32_e32 v25, 0xfffffc10, v30
	v_and_b32_e32 v4, 0xffff, v4
	v_cndmask_b32_e64 v23, 0, 1, vcc_lo
	v_cmp_ne_u32_e32 vcc_lo, v6, v7
	v_sub_nc_u32_e32 v7, 0x3f1, v30
	v_cvt_f32_f16_e32 v9, v9
	v_and_or_b32 v23, 0xffe, v29, v23
	v_cndmask_b32_e64 v6, 0, 1, vcc_lo
	v_lshl_or_b32 v29, v26, 12, v12
	v_cmp_gt_i32_e32 vcc_lo, 1, v26
	v_med3_i32 v32, v7, 0, 13
	v_or_b32_e32 v31, 0x1000, v23
	v_or_b32_e32 v19, v19, v6
	v_cvt_f64_f32_e32 v[6:7], v28
	v_cndmask_b32_e32 v19, v29, v19, vcc_lo
	v_cmp_eq_u32_e32 vcc_lo, 0x40f, v27
	v_and_b32_e32 v16, 7, v19
	v_cndmask_b32_e32 v2, v2, v17, vcc_lo
	v_lshrrev_b32_e32 v17, v32, v31
	v_lshrrev_b32_e32 v19, 2, v19
	v_cmp_lt_i32_e32 vcc_lo, 5, v16
	v_and_or_b32 v2, 0x8000, v20, v2
	v_lshlrev_b32_e32 v27, v32, v17
	v_lshl_or_b32 v2, v2, 16, v4
	v_cmp_ne_u32_e64 s0, v27, v31
	v_lshl_or_b32 v27, v25, 12, v23
	v_cndmask_b32_e64 v20, 0, 1, s0
	v_cmp_eq_u32_e64 s0, 3, v16
	v_or_b32_e32 v20, v17, v20
	v_mul_f64 v[16:17], v[6:7], s[8:9]
	v_cvt_f64_f32_e32 v[6:7], v9
	s_or_b32 vcc_lo, s0, vcc_lo
	v_add_co_ci_u32_e32 v9, vcc_lo, 0, v19, vcc_lo
	v_cmp_ne_u32_e32 vcc_lo, 0, v12
	v_cndmask_b32_e64 v12, 0, 1, vcc_lo
	v_cmp_gt_i32_e32 vcc_lo, 1, v25
	v_cndmask_b32_e32 v27, v27, v20, vcc_lo
	v_cmp_gt_i32_e32 vcc_lo, 31, v26
	v_and_or_b32 v16, 0x1ff, v17, v16
	v_cndmask_b32_e32 v4, 0x7c00, v9, vcc_lo
	v_add_co_u32 v19, vcc_lo, v21, s6
	v_add_co_ci_u32_e32 v20, vcc_lo, s3, v22, vcc_lo
	v_lshl_or_b32 v9, v12, 9, 0x7c00
	v_and_b32_e32 v12, 7, v27
	v_cmp_eq_u32_e32 vcc_lo, 0x40f, v26
	v_mul_f64 v[21:22], v[6:7], s[8:9]
	v_cmp_ne_u32_e64 s1, 0, v16
	v_lshrrev_b32_e32 v7, 8, v17
	v_cmp_eq_u32_e64 s0, 3, v12
	v_cndmask_b32_e32 v4, v4, v9, vcc_lo
	v_cmp_lt_i32_e32 vcc_lo, 5, v12
	v_lshrrev_b32_e32 v9, 16, v18
	v_lshrrev_b32_e32 v12, 2, v27
	v_lshrrev_b32_e32 v18, 16, v11
	v_cndmask_b32_e64 v6, 0, 1, s1
	v_bfe_u32 v16, v17, 20, 11
	s_or_b32 vcc_lo, s0, vcc_lo
	v_and_or_b32 v4, 0x8000, v9, v4
	v_mul_f16_sdwa v26, v153, v18 dst_sel:DWORD dst_unused:UNUSED_PAD src0_sel:WORD_1 src1_sel:DWORD
	v_add_co_ci_u32_e32 v12, vcc_lo, 0, v12, vcc_lo
	v_and_or_b32 v27, 0xffe, v7, v6
	v_sub_nc_u32_e32 v6, 0x3f1, v16
	v_cmp_ne_u32_e32 vcc_lo, 0, v23
	v_fmac_f16_e32 v26, v153, v11
	v_add_nc_u32_e32 v16, 0xfffffc10, v16
	v_or_b32_e32 v23, 0x1000, v27
	v_med3_i32 v28, v6, 0, 13
	v_cndmask_b32_e64 v7, 0, 1, vcc_lo
	v_cmp_gt_i32_e32 vcc_lo, 31, v25
	v_cvt_f32_f16_e32 v6, v26
	v_and_or_b32 v21, 0x1ff, v22, v21
	v_lshrrev_b32_e32 v29, v28, v23
	v_lshl_or_b32 v26, v7, 9, 0x7c00
	v_cndmask_b32_e32 v12, 0x7c00, v12, vcc_lo
	v_cmp_eq_u32_e32 vcc_lo, 0x40f, v25
	v_cvt_f64_f32_e32 v[6:7], v6
	v_lshrrev_b32_e32 v25, 8, v22
	v_and_b32_e32 v4, 0xffff, v4
	global_store_dword v[19:20], v2, off
	v_cndmask_b32_e32 v9, v12, v26, vcc_lo
	v_lshlrev_b32_e32 v12, v28, v29
	v_cmp_ne_u32_e32 vcc_lo, 0, v21
	v_bfe_u32 v26, v22, 20, 11
	v_lshrrev_b32_e32 v22, 16, v22
	v_cndmask_b32_e64 v21, 0, 1, vcc_lo
	v_cmp_ne_u32_e32 vcc_lo, v12, v23
	v_lshrrev_b32_e32 v23, 16, v24
	v_sub_nc_u32_e32 v24, 0x3f1, v26
	v_and_or_b32 v21, 0xffe, v25, v21
	v_cndmask_b32_e64 v12, 0, 1, vcc_lo
	v_lshl_or_b32 v25, v16, 12, v27
	v_cmp_gt_i32_e32 vcc_lo, 1, v16
	v_and_or_b32 v9, 0x8000, v23, v9
	v_or_b32_e32 v28, 0x1000, v21
	v_or_b32_e32 v12, v29, v12
	v_med3_i32 v29, v24, 0, 13
	v_mul_f64 v[23:24], v[6:7], s[8:9]
	v_mul_f16_sdwa v6, v153, v11 dst_sel:DWORD dst_unused:UNUSED_PAD src0_sel:WORD_1 src1_sel:DWORD
	v_lshl_or_b32 v4, v9, 16, v4
	v_cndmask_b32_e32 v12, v25, v12, vcc_lo
	v_lshrrev_b32_e32 v7, v29, v28
	v_fma_f16 v2, v153, v18, -v6
	v_add_nc_u32_e32 v18, 0xfffffc10, v26
	v_and_b32_e32 v11, 7, v12
	v_lshlrev_b32_e32 v6, v29, v7
	v_lshrrev_b32_e32 v9, 2, v12
	v_cvt_f32_f16_e32 v2, v2
	v_cmp_lt_i32_e32 vcc_lo, 5, v11
	v_cmp_eq_u32_e64 s0, 3, v11
	v_cmp_ne_u32_e64 s1, v6, v28
	v_cvt_f64_f32_e32 v[11:12], v2
	s_or_b32 vcc_lo, s0, vcc_lo
	v_cndmask_b32_e64 v6, 0, 1, s1
	v_add_co_ci_u32_e32 v2, vcc_lo, 0, v9, vcc_lo
	v_cmp_ne_u32_e32 vcc_lo, 0, v27
	v_and_or_b32 v9, 0x1ff, v24, v23
	v_or_b32_e32 v6, v7, v6
	v_lshl_or_b32 v7, v18, 12, v21
	v_bfe_u32 v26, v24, 20, 11
	v_cndmask_b32_e64 v23, 0, 1, vcc_lo
	v_cmp_gt_i32_e32 vcc_lo, 1, v18
	v_lshl_or_b32 v23, v23, 9, 0x7c00
	v_cndmask_b32_e32 v25, v7, v6, vcc_lo
	v_cmp_ne_u32_e32 vcc_lo, 0, v9
	ds_read2_b32 v[6:7], v15 offset0:184 offset1:239
	v_lshrrev_b32_e32 v15, 8, v24
	v_mul_f64 v[11:12], v[11:12], s[8:9]
	v_and_b32_e32 v27, 7, v25
	v_cndmask_b32_e64 v9, 0, 1, vcc_lo
	v_cmp_gt_i32_e32 vcc_lo, 31, v16
	v_cmp_eq_u32_e64 s0, 3, v27
	v_and_or_b32 v9, 0xffe, v15, v9
	v_cndmask_b32_e32 v2, 0x7c00, v2, vcc_lo
	v_cmp_eq_u32_e32 vcc_lo, 0x40f, v16
	v_lshrrev_b32_e32 v16, 16, v17
	v_sub_nc_u32_e32 v15, 0x3f1, v26
	v_or_b32_e32 v17, 0x1000, v9
	v_add_nc_u32_e32 v26, 0xfffffc10, v26
	v_cndmask_b32_e32 v2, v2, v23, vcc_lo
	v_cmp_lt_i32_e32 vcc_lo, 5, v27
	v_med3_i32 v15, v15, 0, 13
	s_waitcnt lgkmcnt(0)
	v_lshrrev_b32_e32 v23, 16, v6
	v_and_or_b32 v2, 0x8000, v16, v2
	v_lshrrev_b32_e32 v16, 2, v25
	s_or_b32 vcc_lo, s0, vcc_lo
	v_lshrrev_b32_e32 v25, v15, v17
	v_mul_f16_sdwa v27, v152, v23 dst_sel:DWORD dst_unused:UNUSED_PAD src0_sel:WORD_1 src1_sel:DWORD
	v_and_or_b32 v11, 0x1ff, v12, v11
	v_add_co_ci_u32_e32 v16, vcc_lo, 0, v16, vcc_lo
	v_cmp_ne_u32_e32 vcc_lo, 0, v21
	v_lshlrev_b32_e32 v15, v15, v25
	v_fmac_f16_e32 v27, v152, v6
	v_bfe_u32 v29, v12, 20, 11
	v_mul_f16_sdwa v6, v152, v6 dst_sel:DWORD dst_unused:UNUSED_PAD src0_sel:WORD_1 src1_sel:DWORD
	v_cndmask_b32_e64 v21, 0, 1, vcc_lo
	v_cmp_gt_i32_e32 vcc_lo, 31, v18
	v_and_b32_e32 v2, 0xffff, v2
	v_lshl_or_b32 v21, v21, 9, 0x7c00
	v_cndmask_b32_e32 v28, 0x7c00, v16, vcc_lo
	v_cmp_ne_u32_e32 vcc_lo, v15, v17
	v_cvt_f32_f16_e32 v15, v27
	v_lshrrev_b32_e32 v27, 8, v12
	v_cndmask_b32_e64 v17, 0, 1, vcc_lo
	v_cmp_ne_u32_e32 vcc_lo, 0, v11
	v_cvt_f64_f32_e32 v[15:16], v15
	v_or_b32_e32 v17, v25, v17
	v_cndmask_b32_e64 v11, 0, 1, vcc_lo
	v_cmp_eq_u32_e32 vcc_lo, 0x40f, v18
	v_sub_nc_u32_e32 v25, 0x3f1, v29
	v_lshl_or_b32 v18, v26, 12, v9
	v_and_or_b32 v11, 0xffe, v27, v11
	v_cndmask_b32_e32 v21, v28, v21, vcc_lo
	v_cmp_gt_i32_e32 vcc_lo, 1, v26
	v_med3_i32 v25, v25, 0, 13
	v_or_b32_e32 v28, 0x1000, v11
	v_cndmask_b32_e32 v27, v18, v17, vcc_lo
	v_add_co_u32 v17, vcc_lo, v19, s6
	v_add_co_ci_u32_e32 v18, vcc_lo, s3, v20, vcc_lo
	v_lshrrev_b32_e32 v20, v25, v28
	v_and_or_b32 v19, 0x8000, v22, v21
	v_and_b32_e32 v21, 7, v27
	v_mul_f64 v[15:16], v[15:16], s[8:9]
	global_store_dword v[17:18], v4, off
	v_lshlrev_b32_e32 v22, v25, v20
	v_fma_f16 v4, v152, v23, -v6
	v_cmp_lt_i32_e32 vcc_lo, 5, v21
	v_lshl_or_b32 v2, v19, 16, v2
	v_cmp_ne_u32_e64 s0, v22, v28
	v_cvt_f32_f16_e32 v4, v4
	v_add_nc_u32_e32 v22, 0xfffffc10, v29
	v_cndmask_b32_e64 v6, 0, 1, s0
	v_cmp_eq_u32_e64 s0, 3, v21
	v_lshrrev_b32_e32 v21, 2, v27
	v_lshl_or_b32 v23, v22, 12, v11
	v_or_b32_e32 v6, v20, v6
	s_or_b32 vcc_lo, s0, vcc_lo
	v_cvt_f64_f32_e32 v[19:20], v4
	v_add_co_ci_u32_e32 v4, vcc_lo, 0, v21, vcc_lo
	v_cmp_ne_u32_e32 vcc_lo, 0, v9
	v_and_or_b32 v15, 0x1ff, v16, v15
	v_bfe_u32 v25, v16, 20, 11
	v_cndmask_b32_e64 v9, 0, 1, vcc_lo
	v_cmp_gt_i32_e32 vcc_lo, 1, v22
	v_lshl_or_b32 v9, v9, 9, 0x7c00
	v_cndmask_b32_e32 v6, v23, v6, vcc_lo
	v_cmp_gt_i32_e32 vcc_lo, 31, v26
	v_lshrrev_b32_e32 v23, 8, v16
	v_lshrrev_b32_e32 v16, 16, v16
	v_and_b32_e32 v21, 7, v6
	v_cndmask_b32_e32 v4, 0x7c00, v4, vcc_lo
	v_cmp_ne_u32_e32 vcc_lo, 0, v15
	v_mul_f64 v[19:20], v[19:20], s[8:9]
	v_lshrrev_b32_e32 v6, 2, v6
	v_cmp_eq_u32_e64 s0, 3, v21
	v_cndmask_b32_e64 v15, 0, 1, vcc_lo
	v_cmp_eq_u32_e32 vcc_lo, 0x40f, v26
	v_and_or_b32 v15, 0xffe, v23, v15
	v_cndmask_b32_e32 v4, v4, v9, vcc_lo
	v_cmp_lt_i32_e32 vcc_lo, 5, v21
	v_sub_nc_u32_e32 v23, 0x3f1, v25
	v_lshrrev_b32_e32 v9, 16, v24
	v_or_b32_e32 v21, 0x1000, v15
	v_lshrrev_b32_e32 v24, 16, v5
	s_or_b32 vcc_lo, s0, vcc_lo
	v_med3_i32 v23, v23, 0, 13
	v_add_co_ci_u32_e32 v6, vcc_lo, 0, v6, vcc_lo
	v_cmp_ne_u32_e32 vcc_lo, 0, v11
	v_mul_f16_sdwa v27, v151, v24 dst_sel:DWORD dst_unused:UNUSED_PAD src0_sel:WORD_1 src1_sel:DWORD
	v_lshrrev_b32_e32 v26, v23, v21
	v_and_or_b32 v4, 0x8000, v9, v4
	v_and_or_b32 v19, 0x1ff, v20, v19
	v_cndmask_b32_e64 v11, 0, 1, vcc_lo
	v_cmp_gt_i32_e32 vcc_lo, 31, v22
	v_lshlrev_b32_e32 v9, v23, v26
	v_fmac_f16_e32 v27, v151, v5
	v_bfe_u32 v23, v20, 20, 11
	v_lshl_or_b32 v11, v11, 9, 0x7c00
	v_cndmask_b32_e32 v6, 0x7c00, v6, vcc_lo
	v_cmp_eq_u32_e32 vcc_lo, 0x40f, v22
	v_lshrrev_b32_e32 v22, 16, v12
	v_add_nc_u32_e32 v25, 0xfffffc10, v25
	v_and_b32_e32 v4, 0xffff, v4
	v_mul_f16_sdwa v5, v151, v5 dst_sel:DWORD dst_unused:UNUSED_PAD src0_sel:WORD_1 src1_sel:DWORD
	v_cndmask_b32_e32 v6, v6, v11, vcc_lo
	v_cmp_ne_u32_e32 vcc_lo, v9, v21
	v_cvt_f32_f16_e32 v11, v27
	v_lshrrev_b32_e32 v21, 8, v20
	v_fma_f16 v5, v151, v24, -v5
	v_and_or_b32 v6, 0x8000, v22, v6
	v_cndmask_b32_e64 v9, 0, 1, vcc_lo
	v_cmp_ne_u32_e32 vcc_lo, 0, v19
	v_cvt_f64_f32_e32 v[11:12], v11
	v_lshl_or_b32 v22, v25, 12, v15
	v_lshl_or_b32 v4, v6, 16, v4
	v_or_b32_e32 v9, v26, v9
	v_cndmask_b32_e64 v19, 0, 1, vcc_lo
	v_cmp_gt_i32_e32 vcc_lo, 1, v25
	v_cvt_f32_f16_e32 v5, v5
	v_and_or_b32 v19, 0xffe, v21, v19
	v_sub_nc_u32_e32 v21, 0x3f1, v23
	v_cndmask_b32_e32 v9, v22, v9, vcc_lo
	v_add_co_u32 v17, vcc_lo, v17, s6
	v_or_b32_e32 v26, 0x1000, v19
	v_med3_i32 v27, v21, 0, 13
	v_add_co_ci_u32_e32 v18, vcc_lo, s3, v18, vcc_lo
	v_and_b32_e32 v6, 7, v9
	v_add_co_u32 v21, vcc_lo, v17, s4
	v_lshrrev_b32_e32 v28, v27, v26
	v_mul_f64 v[11:12], v[11:12], s[8:9]
	v_add_co_ci_u32_e32 v22, vcc_lo, s2, v18, vcc_lo
	v_cmp_lt_i32_e32 vcc_lo, 5, v6
	v_lshlrev_b32_e32 v27, v27, v28
	v_cmp_eq_u32_e64 s0, 3, v6
	v_lshrrev_b32_e32 v6, 2, v9
	v_cmp_ne_u32_e64 s1, v27, v26
	s_or_b32 vcc_lo, s0, vcc_lo
	v_add_nc_u32_e32 v26, 0xfffffc10, v23
	v_add_co_ci_u32_e32 v27, vcc_lo, 0, v6, vcc_lo
	v_cndmask_b32_e64 v9, 0, 1, s1
	v_cmp_ne_u32_e32 vcc_lo, 0, v15
	v_cvt_f64_f32_e32 v[23:24], v5
	ds_read2_b32 v[5:6], v14 offset0:94 offset1:149
	global_store_dword v[17:18], v2, off
	global_store_dword v[21:22], v4, off
	v_or_b32_e32 v9, v28, v9
	v_lshl_or_b32 v28, v26, 12, v19
	v_cndmask_b32_e64 v14, 0, 1, vcc_lo
	v_cmp_gt_i32_e32 vcc_lo, 1, v26
	v_and_or_b32 v11, 0x1ff, v12, v11
	v_bfe_u32 v29, v12, 20, 11
	v_lshl_or_b32 v14, v14, 9, 0x7c00
	v_cndmask_b32_e32 v9, v28, v9, vcc_lo
	v_cmp_gt_i32_e32 vcc_lo, 31, v25
	v_lshrrev_b32_e32 v28, 8, v12
	v_cndmask_b32_e32 v15, 0x7c00, v27, vcc_lo
	v_cmp_ne_u32_e32 vcc_lo, 0, v11
	v_and_b32_e32 v27, 7, v9
	v_lshrrev_b32_e32 v9, 2, v9
	v_cndmask_b32_e64 v11, 0, 1, vcc_lo
	v_cmp_eq_u32_e32 vcc_lo, 0x40f, v25
	v_cmp_eq_u32_e64 s0, 3, v27
	v_and_or_b32 v11, 0xffe, v28, v11
	v_cndmask_b32_e32 v25, v15, v14, vcc_lo
	v_cmp_lt_i32_e32 vcc_lo, 5, v27
	v_mul_f64 v[14:15], v[23:24], s[8:9]
	v_sub_nc_u32_e32 v28, 0x3f1, v29
	v_or_b32_e32 v24, 0x1000, v11
	s_waitcnt lgkmcnt(0)
	v_lshrrev_b32_e32 v23, 16, v5
	s_or_b32 vcc_lo, s0, vcc_lo
	v_and_or_b32 v16, 0x8000, v16, v25
	v_add_co_ci_u32_e32 v9, vcc_lo, 0, v9, vcc_lo
	v_med3_i32 v27, v28, 0, 13
	v_cmp_ne_u32_e32 vcc_lo, 0, v19
	v_mul_f16_sdwa v28, v150, v23 dst_sel:DWORD dst_unused:UNUSED_PAD src0_sel:WORD_1 src1_sel:DWORD
	v_and_b32_e32 v16, 0xffff, v16
	v_lshrrev_b32_e32 v30, v27, v24
	v_cndmask_b32_e64 v19, 0, 1, vcc_lo
	v_cmp_gt_i32_e32 vcc_lo, 31, v26
	v_fmac_f16_e32 v28, v150, v5
	v_lshlrev_b32_e32 v25, v27, v30
	v_lshl_or_b32 v19, v19, 9, 0x7c00
	v_cndmask_b32_e32 v9, 0x7c00, v9, vcc_lo
	v_cmp_eq_u32_e32 vcc_lo, 0x40f, v26
	v_and_or_b32 v14, 0x1ff, v15, v14
	v_cvt_f32_f16_e32 v27, v28
	v_lshrrev_b32_e32 v26, 16, v20
	v_bfe_u32 v28, v15, 20, 11
	v_cndmask_b32_e32 v9, v9, v19, vcc_lo
	v_cmp_ne_u32_e32 vcc_lo, v25, v24
	v_cvt_f64_f32_e32 v[19:20], v27
	v_add_nc_u32_e32 v25, 0xfffffc10, v29
	v_lshrrev_b32_e32 v27, 8, v15
	v_and_or_b32 v9, 0x8000, v26, v9
	v_cndmask_b32_e64 v24, 0, 1, vcc_lo
	v_cmp_ne_u32_e32 vcc_lo, 0, v14
	v_lshl_or_b32 v26, v25, 12, v11
	v_lshl_or_b32 v2, v9, 16, v16
	v_or_b32_e32 v24, v30, v24
	v_cndmask_b32_e64 v14, 0, 1, vcc_lo
	v_cmp_gt_i32_e32 vcc_lo, 1, v25
	v_and_or_b32 v14, 0xffe, v27, v14
	v_sub_nc_u32_e32 v27, 0x3f1, v28
	v_cndmask_b32_e32 v24, v26, v24, vcc_lo
	v_add_co_u32 v4, vcc_lo, v21, s6
	v_or_b32_e32 v26, 0x1000, v14
	v_med3_i32 v27, v27, 0, 13
	v_and_b32_e32 v9, 7, v24
	v_mul_f64 v[16:17], v[19:20], s[8:9]
	v_mul_f16_sdwa v19, v150, v5 dst_sel:DWORD dst_unused:UNUSED_PAD src0_sel:WORD_1 src1_sel:DWORD
	v_add_co_ci_u32_e32 v5, vcc_lo, s3, v22, vcc_lo
	v_lshrrev_b32_e32 v18, v27, v26
	v_cmp_lt_i32_e32 vcc_lo, 5, v9
	v_cmp_eq_u32_e64 s0, 3, v9
	v_fma_f16 v9, v150, v23, -v19
	v_lshrrev_b32_e32 v19, 2, v24
	v_lshlrev_b32_e32 v20, v27, v18
	v_add_nc_u32_e32 v21, 0xfffffc10, v28
	s_or_b32 vcc_lo, s0, vcc_lo
	v_cvt_f32_f16_e32 v9, v9
	v_add_co_ci_u32_e32 v22, vcc_lo, 0, v19, vcc_lo
	v_cmp_ne_u32_e64 s1, v20, v26
	v_cmp_ne_u32_e32 vcc_lo, 0, v11
	v_lshl_or_b32 v23, v21, 12, v14
	global_store_dword v[4:5], v2, off
	v_cndmask_b32_e64 v20, 0, 1, s1
	v_and_or_b32 v16, 0x1ff, v17, v16
	v_bfe_u32 v24, v17, 20, 11
	v_or_b32_e32 v20, v18, v20
	v_cvt_f64_f32_e32 v[18:19], v9
	v_cndmask_b32_e64 v9, 0, 1, vcc_lo
	v_cmp_gt_i32_e32 vcc_lo, 1, v21
	v_lshl_or_b32 v9, v9, 9, 0x7c00
	v_cndmask_b32_e32 v11, v23, v20, vcc_lo
	v_cmp_gt_i32_e32 vcc_lo, 31, v25
	v_lshrrev_b32_e32 v23, 8, v17
	v_lshrrev_b32_e32 v17, 16, v17
	v_cndmask_b32_e32 v20, 0x7c00, v22, vcc_lo
	v_cmp_ne_u32_e32 vcc_lo, 0, v16
	v_and_b32_e32 v22, 7, v11
	v_cndmask_b32_e64 v16, 0, 1, vcc_lo
	v_cmp_eq_u32_e32 vcc_lo, 0x40f, v25
	v_cmp_eq_u32_e64 s0, 3, v22
	v_and_or_b32 v16, 0xffe, v23, v16
	v_cndmask_b32_e32 v9, v20, v9, vcc_lo
	v_cmp_lt_i32_e32 vcc_lo, 5, v22
	v_lshrrev_b32_e32 v20, 16, v12
	v_lshrrev_b32_e32 v22, 2, v11
	v_mul_f64 v[11:12], v[18:19], s[8:9]
	v_sub_nc_u32_e32 v23, 0x3f1, v24
	s_or_b32 vcc_lo, s0, vcc_lo
	v_or_b32_e32 v25, 0x1000, v16
	v_add_co_ci_u32_e32 v22, vcc_lo, 0, v22, vcc_lo
	v_med3_i32 v18, v23, 0, 13
	v_cmp_ne_u32_e32 vcc_lo, 0, v14
	v_lshrrev_b32_e32 v19, 16, v8
	v_and_or_b32 v9, 0x8000, v20, v9
	v_lshrrev_b32_e32 v26, v18, v25
	v_cndmask_b32_e64 v14, 0, 1, vcc_lo
	v_cmp_gt_i32_e32 vcc_lo, 31, v21
	v_mul_f16_sdwa v23, v149, v19 dst_sel:DWORD dst_unused:UNUSED_PAD src0_sel:WORD_1 src1_sel:DWORD
	v_and_b32_e32 v9, 0xffff, v9
	v_lshlrev_b32_e32 v18, v18, v26
	v_lshl_or_b32 v14, v14, 9, 0x7c00
	v_cndmask_b32_e32 v22, 0x7c00, v22, vcc_lo
	v_cmp_eq_u32_e32 vcc_lo, 0x40f, v21
	v_fmac_f16_e32 v23, v149, v8
	v_add_nc_u32_e32 v21, 0xfffffc10, v24
	v_and_or_b32 v11, 0x1ff, v12, v11
	v_lshrrev_b32_e32 v24, 8, v12
	v_cndmask_b32_e32 v20, v22, v14, vcc_lo
	v_cmp_ne_u32_e32 vcc_lo, v18, v25
	v_cvt_f32_f16_e32 v14, v23
	v_lshrrev_b32_e32 v22, 16, v15
	v_lshl_or_b32 v23, v21, 12, v16
	v_bfe_u32 v25, v12, 20, 11
	v_cndmask_b32_e64 v18, 0, 1, vcc_lo
	v_cmp_ne_u32_e32 vcc_lo, 0, v11
	v_cvt_f64_f32_e32 v[14:15], v14
	v_and_or_b32 v20, 0x8000, v22, v20
	v_sub_nc_u32_e32 v22, 0x3f1, v25
	v_or_b32_e32 v18, v26, v18
	v_cndmask_b32_e64 v11, 0, 1, vcc_lo
	v_cmp_gt_i32_e32 vcc_lo, 1, v21
	v_lshl_or_b32 v20, v20, 16, v9
	v_med3_i32 v22, v22, 0, 13
	v_and_or_b32 v11, 0xffe, v24, v11
	v_cndmask_b32_e32 v18, v23, v18, vcc_lo
	v_mul_f16_sdwa v24, v149, v8 dst_sel:DWORD dst_unused:UNUSED_PAD src0_sel:WORD_1 src1_sel:DWORD
	v_or_b32_e32 v23, 0x1000, v11
	v_and_b32_e32 v2, 7, v18
	v_fma_f16 v19, v149, v19, -v24
	v_cmp_lt_i32_e32 vcc_lo, 5, v2
	v_cmp_eq_u32_e64 s0, 3, v2
	v_lshrrev_b32_e32 v2, v22, v23
	v_mul_f64 v[8:9], v[14:15], s[8:9]
	v_add_co_u32 v14, s1, v4, s6
	v_lshrrev_b32_e32 v4, 2, v18
	v_lshlrev_b32_e32 v22, v22, v2
	s_or_b32 vcc_lo, s0, vcc_lo
	v_add_co_ci_u32_e64 v15, s1, s3, v5, s1
	v_add_co_ci_u32_e32 v24, vcc_lo, 0, v4, vcc_lo
	v_cmp_ne_u32_e32 vcc_lo, v22, v23
	v_cvt_f32_f16_e32 v5, v19
	v_add_nc_u32_e32 v23, 0xfffffc10, v25
	global_store_dword v[14:15], v20, off
	v_cndmask_b32_e64 v22, 0, 1, vcc_lo
	v_cmp_ne_u32_e32 vcc_lo, 0, v16
	v_cvt_f64_f32_e32 v[18:19], v5
	ds_read2_b32 v[4:5], v13 offset0:4 offset1:59
	v_lshl_or_b32 v16, v23, 12, v11
	v_or_b32_e32 v2, v2, v22
	v_cndmask_b32_e64 v13, 0, 1, vcc_lo
	v_cmp_gt_i32_e32 vcc_lo, 31, v21
	v_and_or_b32 v8, 0x1ff, v9, v8
	v_lshrrev_b32_e32 v20, 8, v9
	v_lshl_or_b32 v13, v13, 9, 0x7c00
	v_cndmask_b32_e32 v22, 0x7c00, v24, vcc_lo
	v_cmp_gt_i32_e32 vcc_lo, 1, v23
	v_cndmask_b32_e32 v2, v16, v2, vcc_lo
	v_cmp_eq_u32_e32 vcc_lo, 0x40f, v21
	v_bfe_u32 v21, v9, 20, 11
	v_lshrrev_b32_e32 v9, 16, v9
	v_and_b32_e32 v16, 7, v2
	v_cndmask_b32_e32 v13, v22, v13, vcc_lo
	v_cmp_ne_u32_e32 vcc_lo, 0, v8
	v_mul_f64 v[18:19], v[18:19], s[8:9]
	s_waitcnt lgkmcnt(0)
	v_lshrrev_b32_e32 v22, 16, v4
	v_cmp_eq_u32_e64 s0, 3, v16
	v_lshrrev_b32_e32 v2, 2, v2
	v_cndmask_b32_e64 v8, 0, 1, vcc_lo
	v_cmp_lt_i32_e32 vcc_lo, 5, v16
	v_mul_f16_sdwa v24, v148, v22 dst_sel:DWORD dst_unused:UNUSED_PAD src0_sel:WORD_1 src1_sel:DWORD
	v_and_or_b32 v13, 0x8000, v17, v13
	v_and_or_b32 v8, 0xffe, v20, v8
	v_sub_nc_u32_e32 v20, 0x3f1, v21
	s_or_b32 vcc_lo, s0, vcc_lo
	v_fmac_f16_e32 v24, v148, v4
	v_add_co_ci_u32_e32 v2, vcc_lo, 0, v2, vcc_lo
	v_or_b32_e32 v25, 0x1000, v8
	v_med3_i32 v16, v20, 0, 13
	v_cmp_gt_i32_e32 vcc_lo, 31, v23
	v_cvt_f32_f16_e32 v17, v24
	v_add_nc_u32_e32 v21, 0xfffffc10, v21
	v_mul_f16_sdwa v4, v148, v4 dst_sel:DWORD dst_unused:UNUSED_PAD src0_sel:WORD_1 src1_sel:DWORD
	v_lshrrev_b32_e32 v20, v16, v25
	v_cndmask_b32_e32 v2, 0x7c00, v2, vcc_lo
	v_cmp_ne_u32_e32 vcc_lo, 0, v11
	v_and_or_b32 v18, 0x1ff, v19, v18
	v_bfe_u32 v26, v19, 20, 11
	v_lshlrev_b32_e32 v24, v16, v20
	v_cvt_f64_f32_e32 v[16:17], v17
	v_cndmask_b32_e64 v11, 0, 1, vcc_lo
	v_fma_f16 v4, v148, v22, -v4
	v_and_b32_e32 v13, 0xffff, v13
	v_cmp_ne_u32_e32 vcc_lo, v24, v25
	v_lshrrev_b32_e32 v25, 8, v19
	v_lshl_or_b32 v11, v11, 9, 0x7c00
	v_cvt_f32_f16_e32 v4, v4
	v_lshrrev_b32_e32 v19, 16, v19
	v_cndmask_b32_e64 v24, 0, 1, vcc_lo
	v_cmp_ne_u32_e32 vcc_lo, 0, v18
	v_or_b32_e32 v20, v20, v24
	v_cndmask_b32_e64 v18, 0, 1, vcc_lo
	v_cmp_eq_u32_e32 vcc_lo, 0x40f, v23
	v_sub_nc_u32_e32 v24, 0x3f1, v26
	v_and_or_b32 v18, 0xffe, v25, v18
	v_lshl_or_b32 v25, v21, 12, v8
	v_cndmask_b32_e32 v2, v2, v11, vcc_lo
	v_cmp_gt_i32_e32 vcc_lo, 1, v21
	v_med3_i32 v24, v24, 0, 13
	v_or_b32_e32 v23, 0x1000, v18
	v_cndmask_b32_e32 v20, v25, v20, vcc_lo
	v_lshrrev_b32_e32 v25, 16, v12
	v_mul_f64 v[11:12], v[16:17], s[8:9]
	v_lshrrev_b32_e32 v27, v24, v23
	v_and_b32_e32 v16, 7, v20
	v_lshrrev_b32_e32 v20, 2, v20
	v_and_or_b32 v2, 0x8000, v25, v2
	v_lshlrev_b32_e32 v17, v24, v27
	v_lshrrev_b32_e32 v24, 16, v10
	v_cmp_lt_i32_e32 vcc_lo, 5, v16
	v_cmp_eq_u32_e64 s0, 3, v16
	v_cmp_ne_u32_e64 s1, v17, v23
	v_cvt_f64_f32_e32 v[16:17], v4
	v_add_nc_u32_e32 v23, 0xfffffc10, v26
	s_or_b32 vcc_lo, s0, vcc_lo
	v_mul_f16_sdwa v25, v147, v24 dst_sel:DWORD dst_unused:UNUSED_PAD src0_sel:WORD_1 src1_sel:DWORD
	v_add_co_ci_u32_e32 v4, vcc_lo, 0, v20, vcc_lo
	v_cmp_ne_u32_e32 vcc_lo, 0, v8
	v_cndmask_b32_e64 v22, 0, 1, s1
	v_fmac_f16_e32 v25, v147, v10
	v_and_or_b32 v11, 0x1ff, v12, v11
	v_cndmask_b32_e64 v8, 0, 1, vcc_lo
	v_cmp_gt_i32_e32 vcc_lo, 31, v21
	v_or_b32_e32 v20, v27, v22
	v_lshl_or_b32 v22, v23, 12, v18
	v_lshl_or_b32 v8, v8, 9, 0x7c00
	v_cndmask_b32_e32 v4, 0x7c00, v4, vcc_lo
	v_cmp_gt_i32_e32 vcc_lo, 1, v23
	v_mul_f64 v[16:17], v[16:17], s[8:9]
	v_cndmask_b32_e32 v20, v22, v20, vcc_lo
	v_cmp_ne_u32_e32 vcc_lo, 0, v11
	v_lshrrev_b32_e32 v22, 8, v12
	v_cndmask_b32_e64 v11, 0, 1, vcc_lo
	v_cmp_eq_u32_e32 vcc_lo, 0x40f, v21
	v_bfe_u32 v21, v12, 20, 11
	v_lshrrev_b32_e32 v12, 16, v12
	v_and_or_b32 v22, 0xffe, v22, v11
	v_cndmask_b32_e32 v4, v4, v8, vcc_lo
	v_and_b32_e32 v8, 7, v20
	v_sub_nc_u32_e32 v11, 0x3f1, v21
	v_add_nc_u32_e32 v21, 0xfffffc10, v21
	v_or_b32_e32 v26, 0x1000, v22
	v_and_or_b32 v4, 0x8000, v9, v4
	v_cmp_lt_i32_e32 vcc_lo, 5, v8
	v_cmp_eq_u32_e64 s0, 3, v8
	v_lshrrev_b32_e32 v8, 2, v20
	v_med3_i32 v11, v11, 0, 13
	v_cvt_f32_f16_e32 v9, v25
	v_and_or_b32 v16, 0x1ff, v17, v16
	s_or_b32 vcc_lo, s0, vcc_lo
	v_bfe_u32 v27, v17, 20, 11
	v_add_co_ci_u32_e32 v25, vcc_lo, 0, v8, vcc_lo
	v_lshrrev_b32_e32 v20, v11, v26
	v_cmp_ne_u32_e32 vcc_lo, 0, v18
	v_cvt_f64_f32_e32 v[8:9], v9
	v_and_b32_e32 v4, 0xffff, v4
	v_lshlrev_b32_e32 v11, v11, v20
	v_cndmask_b32_e64 v18, 0, 1, vcc_lo
	v_cmp_gt_i32_e32 vcc_lo, 31, v23
	v_lshl_or_b32 v18, v18, 9, 0x7c00
	v_cndmask_b32_e32 v25, 0x7c00, v25, vcc_lo
	v_cmp_ne_u32_e32 vcc_lo, v11, v26
	v_lshrrev_b32_e32 v26, 8, v17
	v_lshrrev_b32_e32 v17, 16, v17
	v_cndmask_b32_e64 v11, 0, 1, vcc_lo
	v_cmp_ne_u32_e32 vcc_lo, 0, v16
	v_or_b32_e32 v11, v20, v11
	v_cndmask_b32_e64 v16, 0, 1, vcc_lo
	v_cmp_eq_u32_e32 vcc_lo, 0x40f, v23
	v_mul_f64 v[8:9], v[8:9], s[8:9]
	v_lshl_or_b32 v20, v21, 12, v22
	v_and_or_b32 v23, 0xffe, v26, v16
	v_cndmask_b32_e32 v18, v25, v18, vcc_lo
	v_cmp_gt_i32_e32 vcc_lo, 1, v21
	v_sub_nc_u32_e32 v16, 0x3f1, v27
	v_lshl_or_b32 v26, v2, 16, v13
	v_or_b32_e32 v25, 0x1000, v23
	v_and_or_b32 v2, 0x8000, v19, v18
	v_cndmask_b32_e32 v20, v20, v11, vcc_lo
	v_mul_f16_sdwa v19, v147, v10 dst_sel:DWORD dst_unused:UNUSED_PAD src0_sel:WORD_1 src1_sel:DWORD
	v_med3_i32 v16, v16, 0, 13
	v_add_co_u32 v10, vcc_lo, v14, s6
	v_and_b32_e32 v13, 7, v20
	v_fma_f16 v14, v147, v24, -v19
	v_lshrrev_b32_e32 v18, v16, v25
	v_add_co_ci_u32_e32 v11, vcc_lo, s3, v15, vcc_lo
	v_cmp_lt_i32_e32 vcc_lo, 5, v13
	v_cmp_eq_u32_e64 s0, 3, v13
	v_cvt_f32_f16_e32 v13, v14
	v_lshrrev_b32_e32 v15, 2, v20
	v_lshl_or_b32 v4, v2, 16, v4
	v_lshlrev_b32_e32 v2, v16, v18
	v_and_or_b32 v8, 0x1ff, v9, v8
	v_cvt_f64_f32_e32 v[13:14], v13
	s_or_b32 vcc_lo, s0, vcc_lo
	v_add_nc_u32_e32 v19, 0xfffffc10, v27
	v_add_co_ci_u32_e32 v15, vcc_lo, 0, v15, vcc_lo
	v_cmp_ne_u32_e64 s1, v2, v25
	v_cmp_ne_u32_e32 vcc_lo, 0, v8
	v_lshl_or_b32 v16, v19, 12, v23
	global_store_dword v[10:11], v26, off
	v_cndmask_b32_e64 v2, 0, 1, s1
	v_cndmask_b32_e64 v8, 0, 1, vcc_lo
	v_cmp_ne_u32_e32 vcc_lo, 0, v22
	v_bfe_u32 v22, v9, 20, 11
	v_or_b32_e32 v2, v18, v2
	v_lshrrev_b32_e32 v18, 8, v9
	v_cndmask_b32_e64 v20, 0, 1, vcc_lo
	v_cmp_gt_i32_e32 vcc_lo, 1, v19
	v_lshrrev_b32_e32 v9, 16, v9
	v_and_or_b32 v8, 0xffe, v18, v8
	v_mul_f64 v[13:14], v[13:14], s[8:9]
	v_cndmask_b32_e32 v2, v16, v2, vcc_lo
	v_cmp_gt_i32_e32 vcc_lo, 31, v21
	v_sub_nc_u32_e32 v16, 0x3f1, v22
	v_lshl_or_b32 v18, v20, 9, 0x7c00
	v_or_b32_e32 v24, 0x1000, v8
	v_and_b32_e32 v20, 7, v2
	v_cndmask_b32_e32 v15, 0x7c00, v15, vcc_lo
	v_med3_i32 v25, v16, 0, 13
	v_cmp_eq_u32_e32 vcc_lo, 0x40f, v21
	v_lshrrev_b32_e32 v2, 2, v2
	v_cmp_eq_u32_e64 s0, 3, v20
	v_lshrrev_b32_e32 v21, 16, v3
	v_add_nc_u32_e32 v22, 0xfffffc10, v22
	v_cndmask_b32_e32 v18, v15, v18, vcc_lo
	v_cmp_lt_i32_e32 vcc_lo, 5, v20
	v_lshrrev_b32_e32 v20, v25, v24
	v_add_co_u32 v15, s1, v10, s6
	v_and_or_b32 v18, 0x8000, v12, v18
	s_or_b32 vcc_lo, s0, vcc_lo
	v_lshlrev_b32_e32 v12, v25, v20
	v_add_co_ci_u32_e32 v2, vcc_lo, 0, v2, vcc_lo
	v_and_or_b32 v13, 0x1ff, v14, v13
	v_lshrrev_b32_e32 v25, 8, v14
	v_cmp_ne_u32_e32 vcc_lo, v12, v24
	v_mul_f16_sdwa v24, v146, v21 dst_sel:DWORD dst_unused:UNUSED_PAD src0_sel:WORD_1 src1_sel:DWORD
	v_bfe_u32 v27, v14, 20, 11
	v_add_co_ci_u32_e64 v16, s1, s3, v11, s1
	v_cndmask_b32_e64 v12, 0, 1, vcc_lo
	v_cmp_ne_u32_e32 vcc_lo, 0, v23
	v_fmac_f16_e32 v24, v146, v3
	v_sub_nc_u32_e32 v28, 0x3f1, v27
	v_mul_f16_sdwa v3, v146, v3 dst_sel:DWORD dst_unused:UNUSED_PAD src0_sel:WORD_1 src1_sel:DWORD
	v_or_b32_e32 v12, v20, v12
	v_cndmask_b32_e64 v23, 0, 1, vcc_lo
	v_cmp_ne_u32_e32 vcc_lo, 0, v13
	v_lshl_or_b32 v20, v22, 12, v8
	v_cvt_f32_f16_e32 v24, v24
	v_med3_i32 v28, v28, 0, 13
	v_lshl_or_b32 v23, v23, 9, 0x7c00
	v_cndmask_b32_e64 v13, 0, 1, vcc_lo
	v_cmp_gt_i32_e32 vcc_lo, 1, v22
	v_fma_f16 v3, v146, v21, -v3
	v_and_b32_e32 v18, 0xffff, v18
	global_store_dword v[15:16], v4, off
	v_and_or_b32 v25, 0xffe, v25, v13
	v_cndmask_b32_e32 v20, v20, v12, vcc_lo
	v_cmp_gt_i32_e32 vcc_lo, 31, v19
	v_cvt_f64_f32_e32 v[12:13], v24
	v_or_b32_e32 v29, 0x1000, v25
	v_and_b32_e32 v24, 7, v20
	v_cndmask_b32_e32 v2, 0x7c00, v2, vcc_lo
	v_cmp_eq_u32_e32 vcc_lo, 0x40f, v19
	v_lshrrev_b32_e32 v19, v28, v29
	v_cmp_eq_u32_e64 s0, 3, v24
	v_cndmask_b32_e32 v2, v2, v23, vcc_lo
	v_cmp_lt_i32_e32 vcc_lo, 5, v24
	v_cvt_f32_f16_e32 v23, v3
	v_add_nc_u32_e32 v24, 0xfffffc10, v27
	v_and_or_b32 v17, 0x8000, v17, v2
	v_lshrrev_b32_e32 v2, 2, v20
	v_lshlrev_b32_e32 v20, v28, v19
	s_or_b32 vcc_lo, s0, vcc_lo
	v_lshl_or_b32 v4, v17, 16, v18
	v_add_co_ci_u32_e32 v21, vcc_lo, 0, v2, vcc_lo
	v_cmp_ne_u32_e32 vcc_lo, v20, v29
	v_mul_f64 v[2:3], v[12:13], s[8:9]
	v_cvt_f64_f32_e32 v[12:13], v23
	v_lshrrev_b32_e32 v18, 16, v7
	v_cndmask_b32_e64 v20, 0, 1, vcc_lo
	v_cmp_ne_u32_e32 vcc_lo, 0, v8
	v_or_b32_e32 v19, v19, v20
	v_cndmask_b32_e64 v8, 0, 1, vcc_lo
	v_cmp_gt_i32_e32 vcc_lo, 31, v22
	v_lshl_or_b32 v20, v24, 12, v25
	v_lshl_or_b32 v8, v8, 9, 0x7c00
	v_cndmask_b32_e32 v21, 0x7c00, v21, vcc_lo
	v_cmp_gt_i32_e32 vcc_lo, 1, v24
	v_cndmask_b32_e32 v19, v20, v19, vcc_lo
	v_cmp_eq_u32_e32 vcc_lo, 0x40f, v22
	v_and_or_b32 v2, 0x1ff, v3, v2
	v_lshrrev_b32_e32 v11, 8, v3
	v_mul_f16_sdwa v20, v145, v18 dst_sel:DWORD dst_unused:UNUSED_PAD src0_sel:WORD_1 src1_sel:DWORD
	v_and_b32_e32 v10, 7, v19
	v_cndmask_b32_e32 v8, v21, v8, vcc_lo
	v_cmp_ne_u32_e64 s1, 0, v2
	v_fmac_f16_e32 v20, v145, v7
	v_cmp_lt_i32_e32 vcc_lo, 5, v10
	v_and_or_b32 v17, 0x8000, v9, v8
	v_mul_f64 v[8:9], v[12:13], s[8:9]
	v_cmp_eq_u32_e64 s0, 3, v10
	v_lshrrev_b32_e32 v10, 2, v19
	v_cndmask_b32_e64 v2, 0, 1, s1
	v_bfe_u32 v12, v3, 20, 11
	v_and_b32_e32 v17, 0xffff, v17
	s_or_b32 vcc_lo, s0, vcc_lo
	v_add_co_ci_u32_e32 v10, vcc_lo, 0, v10, vcc_lo
	v_and_or_b32 v2, 0xffe, v11, v2
	v_sub_nc_u32_e32 v11, 0x3f1, v12
	v_cmp_ne_u32_e32 vcc_lo, 0, v25
	v_or_b32_e32 v19, 0x1000, v2
	v_med3_i32 v11, v11, 0, 13
	v_cndmask_b32_e64 v13, 0, 1, vcc_lo
	v_cmp_gt_i32_e32 vcc_lo, 31, v24
	v_lshrrev_b32_e32 v21, v11, v19
	v_lshl_or_b32 v13, v13, 9, 0x7c00
	v_cndmask_b32_e32 v10, 0x7c00, v10, vcc_lo
	v_and_or_b32 v8, 0x1ff, v9, v8
	v_cmp_eq_u32_e32 vcc_lo, 0x40f, v24
	v_lshlrev_b32_e32 v22, v11, v21
	v_bfe_u32 v23, v9, 20, 11
	v_cndmask_b32_e32 v13, v10, v13, vcc_lo
	v_cmp_ne_u32_e32 vcc_lo, 0, v8
	v_cvt_f32_f16_e32 v10, v20
	v_lshrrev_b32_e32 v20, 8, v9
	v_lshrrev_b32_e32 v9, 16, v9
	v_cndmask_b32_e64 v8, 0, 1, vcc_lo
	v_cmp_ne_u32_e32 vcc_lo, v22, v19
	v_cvt_f64_f32_e32 v[10:11], v10
	v_add_nc_u32_e32 v22, 0xfffffc10, v12
	v_lshrrev_b32_e32 v12, 16, v14
	v_and_or_b32 v20, 0xffe, v20, v8
	v_cndmask_b32_e64 v19, 0, 1, vcc_lo
	v_sub_nc_u32_e32 v8, 0x3f1, v23
	v_cmp_gt_i32_e32 vcc_lo, 1, v22
	v_and_or_b32 v24, 0x8000, v12, v13
	v_or_b32_e32 v14, v21, v19
	v_lshl_or_b32 v19, v22, 12, v2
	v_or_b32_e32 v21, 0x1000, v20
	v_med3_i32 v8, v8, 0, 13
	v_cndmask_b32_e32 v14, v19, v14, vcc_lo
	v_add_co_u32 v12, vcc_lo, v15, s6
	v_lshrrev_b32_e32 v19, v8, v21
	v_add_co_ci_u32_e32 v13, vcc_lo, s3, v16, vcc_lo
	v_lshl_or_b32 v16, v24, 16, v17
	v_mul_f16_sdwa v24, v145, v7 dst_sel:DWORD dst_unused:UNUSED_PAD src0_sel:WORD_1 src1_sel:DWORD
	v_lshlrev_b32_e32 v17, v8, v19
	v_and_b32_e32 v15, 7, v14
	v_mul_f64 v[10:11], v[10:11], s[8:9]
	v_add_co_u32 v7, vcc_lo, v12, s6
	v_cmp_ne_u32_e64 s0, v17, v21
	v_fma_f16 v18, v145, v18, -v24
	v_add_co_ci_u32_e32 v8, vcc_lo, s3, v13, vcc_lo
	v_cmp_lt_i32_e32 vcc_lo, 5, v15
	v_cndmask_b32_e64 v17, 0, 1, s0
	v_cmp_eq_u32_e64 s0, 3, v15
	v_add_nc_u32_e32 v21, 0xfffffc10, v23
	v_cvt_f32_f16_e32 v18, v18
	v_lshrrev_b32_e32 v23, 2, v14
	v_or_b32_e32 v17, v19, v17
	s_or_b32 vcc_lo, s0, vcc_lo
	v_lshl_or_b32 v19, v21, 12, v20
	v_cvt_f64_f32_e32 v[14:15], v18
	v_add_co_ci_u32_e32 v18, vcc_lo, 0, v23, vcc_lo
	v_cmp_ne_u32_e32 vcc_lo, 0, v2
	global_store_dword v[12:13], v4, off
	global_store_dword v[7:8], v16, off
	v_and_or_b32 v10, 0x1ff, v11, v10
	v_lshrrev_b32_e32 v23, 8, v11
	v_cndmask_b32_e64 v2, 0, 1, vcc_lo
	v_cmp_gt_i32_e32 vcc_lo, 1, v21
	v_bfe_u32 v24, v11, 20, 11
	v_lshl_or_b32 v2, v2, 9, 0x7c00
	v_cndmask_b32_e32 v17, v19, v17, vcc_lo
	v_cmp_gt_i32_e32 vcc_lo, 31, v22
	v_and_b32_e32 v19, 7, v17
	v_cndmask_b32_e32 v18, 0x7c00, v18, vcc_lo
	v_cmp_ne_u32_e32 vcc_lo, 0, v10
	v_cmp_eq_u32_e64 s0, 3, v19
	v_cndmask_b32_e64 v10, 0, 1, vcc_lo
	v_cmp_eq_u32_e32 vcc_lo, 0x40f, v22
	v_lshrrev_b32_e32 v22, 16, v3
	v_and_or_b32 v23, 0xffe, v23, v10
	v_cndmask_b32_e32 v18, v18, v2, vcc_lo
	v_cmp_lt_i32_e32 vcc_lo, 5, v19
	v_mul_f64 v[2:3], v[14:15], s[8:9]
	v_lshrrev_b32_e32 v14, 2, v17
	v_sub_nc_u32_e32 v10, 0x3f1, v24
	v_or_b32_e32 v15, 0x1000, v23
	s_or_b32 vcc_lo, s0, vcc_lo
	v_lshrrev_b32_e32 v17, 16, v0
	v_add_co_ci_u32_e32 v14, vcc_lo, 0, v14, vcc_lo
	v_med3_i32 v10, v10, 0, 13
	v_cmp_ne_u32_e32 vcc_lo, 0, v20
	v_mul_f16_sdwa v20, v144, v17 dst_sel:DWORD dst_unused:UNUSED_PAD src0_sel:WORD_1 src1_sel:DWORD
	v_and_or_b32 v18, 0x8000, v22, v18
	v_lshrrev_b32_e32 v25, v10, v15
	v_cndmask_b32_e64 v19, 0, 1, vcc_lo
	v_cmp_gt_i32_e32 vcc_lo, 31, v21
	v_fmac_f16_e32 v20, v144, v0
	v_mul_f16_sdwa v0, v144, v0 dst_sel:DWORD dst_unused:UNUSED_PAD src0_sel:WORD_1 src1_sel:DWORD
	v_lshlrev_b32_e32 v10, v10, v25
	v_lshl_or_b32 v19, v19, 9, 0x7c00
	v_cndmask_b32_e32 v14, 0x7c00, v14, vcc_lo
	v_cmp_eq_u32_e32 vcc_lo, 0x40f, v21
	v_and_or_b32 v2, 0x1ff, v3, v2
	v_lshrrev_b32_e32 v21, 8, v3
	v_bfe_u32 v22, v3, 20, 11
	v_fma_f16 v0, v144, v17, -v0
	v_cndmask_b32_e32 v19, v14, v19, vcc_lo
	v_cmp_ne_u32_e32 vcc_lo, v10, v15
	v_cvt_f32_f16_e32 v14, v20
	v_add_nc_u32_e32 v20, 0xfffffc10, v24
	v_cvt_f32_f16_e32 v0, v0
	v_and_or_b32 v9, 0x8000, v9, v19
	v_cndmask_b32_e64 v10, 0, 1, vcc_lo
	v_cmp_ne_u32_e32 vcc_lo, 0, v2
	v_cvt_f64_f32_e32 v[14:15], v14
	v_lshl_or_b32 v24, v20, 12, v23
	v_lshrrev_b32_e32 v3, 16, v3
	v_or_b32_e32 v10, v25, v10
	v_cndmask_b32_e64 v2, 0, 1, vcc_lo
	v_cmp_gt_i32_e32 vcc_lo, 1, v20
	v_and_or_b32 v2, 0xffe, v21, v2
	v_sub_nc_u32_e32 v21, 0x3f1, v22
	v_cndmask_b32_e32 v24, v24, v10, vcc_lo
	v_and_b32_e32 v10, 0xffff, v18
	v_or_b32_e32 v18, 0x1000, v2
	v_med3_i32 v19, v21, 0, 13
	v_and_b32_e32 v21, 7, v24
	v_lshrrev_b32_e32 v13, 2, v24
	v_lshl_or_b32 v4, v9, 16, v10
	v_lshrrev_b32_e32 v12, v19, v18
	v_cmp_lt_i32_e32 vcc_lo, 5, v21
	v_cmp_eq_u32_e64 s0, 3, v21
	v_mul_f64 v[9:10], v[14:15], s[8:9]
	v_add_nc_u32_e32 v15, 0xfffffc10, v22
	v_lshlrev_b32_e32 v14, v19, v12
	s_or_b32 vcc_lo, s0, vcc_lo
	v_add_co_ci_u32_e32 v13, vcc_lo, 0, v13, vcc_lo
	v_cmp_ne_u32_e32 vcc_lo, v14, v18
	v_lshrrev_b32_e32 v18, 16, v11
	v_cndmask_b32_e64 v14, 0, 1, vcc_lo
	v_cmp_ne_u32_e32 vcc_lo, 0, v23
	v_or_b32_e32 v12, v12, v14
	v_cndmask_b32_e64 v16, 0, 1, vcc_lo
	v_cmp_gt_i32_e32 vcc_lo, 31, v20
	v_lshl_or_b32 v14, v15, 12, v2
	v_bfe_u32 v19, v10, 20, 11
	v_lshl_or_b32 v16, v16, 9, 0x7c00
	v_cndmask_b32_e32 v17, 0x7c00, v13, vcc_lo
	v_cmp_gt_i32_e32 vcc_lo, 1, v15
	v_cndmask_b32_e32 v14, v14, v12, vcc_lo
	v_cvt_f64_f32_e32 v[12:13], v0
	v_add_co_u32 v7, vcc_lo, v7, s4
	v_add_co_ci_u32_e32 v8, vcc_lo, s2, v8, vcc_lo
	v_and_or_b32 v0, 0x1ff, v10, v9
	v_cmp_eq_u32_e32 vcc_lo, 0x40f, v20
	v_lshrrev_b32_e32 v20, 16, v6
	global_store_dword v[7:8], v4, off
	v_cndmask_b32_e32 v9, v17, v16, vcc_lo
	v_cmp_ne_u32_e32 vcc_lo, 0, v0
	v_and_b32_e32 v16, 7, v14
	v_lshrrev_b32_e32 v17, 8, v10
	v_lshrrev_b32_e32 v14, 2, v14
	v_and_or_b32 v9, 0x8000, v18, v9
	v_cndmask_b32_e64 v0, 0, 1, vcc_lo
	v_cmp_lt_i32_e32 vcc_lo, 5, v16
	v_cmp_eq_u32_e64 s0, 3, v16
	v_sub_nc_u32_e32 v16, 0x3f1, v19
	v_mul_f64 v[11:12], v[12:13], s[8:9]
	v_and_or_b32 v0, 0xffe, v17, v0
	v_mul_f16_sdwa v17, v143, v20 dst_sel:DWORD dst_unused:UNUSED_PAD src0_sel:WORD_1 src1_sel:DWORD
	s_or_b32 vcc_lo, s0, vcc_lo
	v_med3_i32 v13, v16, 0, 13
	v_add_co_ci_u32_e32 v14, vcc_lo, 0, v14, vcc_lo
	v_or_b32_e32 v21, 0x1000, v0
	v_cmp_ne_u32_e32 vcc_lo, 0, v2
	v_fmac_f16_e32 v17, v143, v6
	v_mul_f16_sdwa v6, v143, v6 dst_sel:DWORD dst_unused:UNUSED_PAD src0_sel:WORD_1 src1_sel:DWORD
	v_lshrrev_b32_e32 v16, v13, v21
	v_cndmask_b32_e64 v2, 0, 1, vcc_lo
	v_cmp_gt_i32_e32 vcc_lo, 31, v15
	v_cvt_f32_f16_e32 v17, v17
	v_fma_f16 v6, v143, v20, -v6
	v_lshlrev_b32_e32 v18, v13, v16
	v_lshl_or_b32 v2, v2, 9, 0x7c00
	v_cndmask_b32_e32 v22, 0x7c00, v14, vcc_lo
	v_cmp_eq_u32_e32 vcc_lo, 0x40f, v15
	v_cvt_f64_f32_e32 v[13:14], v17
	v_and_or_b32 v11, 0x1ff, v12, v11
	v_add_nc_u32_e32 v17, 0xfffffc10, v19
	v_cvt_f32_f16_e32 v6, v6
	v_cndmask_b32_e32 v2, v22, v2, vcc_lo
	v_cmp_ne_u32_e32 vcc_lo, v18, v21
	v_bfe_u32 v18, v12, 20, 11
	v_and_or_b32 v2, 0x8000, v3, v2
	v_cndmask_b32_e64 v15, 0, 1, vcc_lo
	v_cmp_ne_u32_e32 vcc_lo, 0, v11
	v_and_b32_e32 v3, 0xffff, v9
	v_or_b32_e32 v9, v16, v15
	v_cndmask_b32_e64 v11, 0, 1, vcc_lo
	v_lshrrev_b32_e32 v16, 8, v12
	v_lshl_or_b32 v15, v17, 12, v0
	v_cmp_gt_i32_e32 vcc_lo, 1, v17
	v_lshrrev_b32_e32 v12, 16, v12
	v_and_or_b32 v4, 0xffe, v16, v11
	v_sub_nc_u32_e32 v11, 0x3f1, v18
	v_cndmask_b32_e32 v9, v15, v9, vcc_lo
	v_lshl_or_b32 v15, v2, 16, v3
	v_mul_f64 v[2:3], v[13:14], s[8:9]
	v_or_b32_e32 v13, 0x1000, v4
	v_med3_i32 v11, v11, 0, 13
	v_and_b32_e32 v16, 7, v9
	v_add_co_u32 v7, vcc_lo, v7, s6
	v_add_co_ci_u32_e32 v8, vcc_lo, s3, v8, vcc_lo
	v_lshrrev_b32_e32 v19, v11, v13
	v_cmp_lt_i32_e32 vcc_lo, 5, v16
	v_cmp_eq_u32_e64 s0, 3, v16
	v_lshrrev_b32_e32 v9, 2, v9
	global_store_dword v[7:8], v15, off
	v_lshlrev_b32_e32 v11, v11, v19
	v_add_nc_u32_e32 v15, 0xfffffc10, v18
	s_or_b32 vcc_lo, s0, vcc_lo
	v_add_co_ci_u32_e32 v9, vcc_lo, 0, v9, vcc_lo
	v_cmp_ne_u32_e32 vcc_lo, v11, v13
	v_cvt_f64_f32_e32 v[13:14], v6
	v_and_or_b32 v2, 0x1ff, v3, v2
	v_lshrrev_b32_e32 v16, 8, v3
	v_cndmask_b32_e64 v11, 0, 1, vcc_lo
	v_cmp_gt_i32_e32 vcc_lo, 31, v17
	v_bfe_u32 v18, v3, 20, 11
	v_or_b32_e32 v6, v19, v11
	v_cndmask_b32_e32 v9, 0x7c00, v9, vcc_lo
	v_cmp_ne_u32_e32 vcc_lo, 0, v2
	v_lshl_or_b32 v11, v15, 12, v4
	v_cndmask_b32_e64 v2, 0, 1, vcc_lo
	v_cmp_ne_u32_e32 vcc_lo, 0, v0
	v_and_or_b32 v2, 0xffe, v16, v2
	v_cndmask_b32_e64 v0, 0, 1, vcc_lo
	v_cmp_gt_i32_e32 vcc_lo, 1, v15
	v_lshrrev_b32_e32 v16, 16, v1
	v_mul_f64 v[13:14], v[13:14], s[8:9]
	v_or_b32_e32 v20, 0x1000, v2
	v_lshl_or_b32 v0, v0, 9, 0x7c00
	v_cndmask_b32_e32 v6, v11, v6, vcc_lo
	v_sub_nc_u32_e32 v11, 0x3f1, v18
	v_cmp_eq_u32_e32 vcc_lo, 0x40f, v17
	v_mul_f16_sdwa v21, v142, v16 dst_sel:DWORD dst_unused:UNUSED_PAD src0_sel:WORD_1 src1_sel:DWORD
	v_add_nc_u32_e32 v18, 0xfffffc10, v18
	v_and_b32_e32 v19, 7, v6
	v_med3_i32 v11, v11, 0, 13
	v_cndmask_b32_e32 v0, v9, v0, vcc_lo
	v_lshrrev_b32_e32 v6, 2, v6
	v_fmac_f16_e32 v21, v142, v1
	v_cmp_lt_i32_e32 vcc_lo, 5, v19
	v_cmp_eq_u32_e64 s0, 3, v19
	v_lshrrev_b32_e32 v17, v11, v20
	v_lshrrev_b32_e32 v19, 16, v10
	v_cvt_f32_f16_e32 v9, v21
	v_mul_f16_sdwa v1, v142, v1 dst_sel:DWORD dst_unused:UNUSED_PAD src0_sel:WORD_1 src1_sel:DWORD
	s_or_b32 vcc_lo, s0, vcc_lo
	v_lshlrev_b32_e32 v11, v11, v17
	v_add_co_ci_u32_e32 v6, vcc_lo, 0, v6, vcc_lo
	v_cmp_ne_u32_e32 vcc_lo, 0, v4
	v_cvt_f64_f32_e32 v[9:10], v9
	v_and_or_b32 v13, 0x1ff, v14, v13
	v_and_or_b32 v0, 0x8000, v19, v0
	v_fma_f16 v1, v142, v16, -v1
	v_cndmask_b32_e64 v4, 0, 1, vcc_lo
	v_cmp_ne_u32_e32 vcc_lo, v11, v20
	v_lshrrev_b32_e32 v21, 16, v5
	v_and_b32_e32 v0, 0xffff, v0
	v_cvt_f32_f16_e32 v1, v1
	v_lshl_or_b32 v4, v4, 9, 0x7c00
	v_cndmask_b32_e64 v11, 0, 1, vcc_lo
	v_cmp_gt_i32_e32 vcc_lo, 31, v15
	v_or_b32_e32 v11, v17, v11
	v_cndmask_b32_e32 v6, 0x7c00, v6, vcc_lo
	v_cmp_eq_u32_e32 vcc_lo, 0x40f, v15
	v_lshl_or_b32 v17, v18, 12, v2
	v_bfe_u32 v15, v14, 20, 11
	v_cndmask_b32_e32 v4, v6, v4, vcc_lo
	v_cmp_gt_i32_e32 vcc_lo, 1, v18
	v_mul_f64 v[9:10], v[9:10], s[8:9]
	v_and_or_b32 v4, 0x8000, v12, v4
	v_cndmask_b32_e32 v6, v17, v11, vcc_lo
	v_cmp_ne_u32_e32 vcc_lo, 0, v13
	v_lshrrev_b32_e32 v13, 8, v14
	v_lshl_or_b32 v16, v4, 16, v0
	v_and_b32_e32 v17, 7, v6
	v_cndmask_b32_e64 v11, 0, 1, vcc_lo
	v_lshrrev_b32_e32 v6, 2, v6
	v_cmp_lt_i32_e32 vcc_lo, 5, v17
	v_and_or_b32 v11, 0xffe, v13, v11
	v_sub_nc_u32_e32 v13, 0x3f1, v15
	v_cmp_eq_u32_e64 s0, 3, v17
	v_or_b32_e32 v12, 0x1000, v11
	v_med3_i32 v13, v13, 0, 13
	s_or_b32 vcc_lo, s0, vcc_lo
	v_add_co_ci_u32_e32 v6, vcc_lo, 0, v6, vcc_lo
	v_lshrrev_b32_e32 v17, v13, v12
	v_cmp_gt_i32_e32 vcc_lo, 31, v18
	v_lshlrev_b32_e32 v0, v13, v17
	v_cndmask_b32_e32 v4, 0x7c00, v6, vcc_lo
	v_and_or_b32 v6, 0x1ff, v10, v9
	v_lshrrev_b32_e32 v13, 8, v10
	v_cmp_ne_u32_e32 vcc_lo, v0, v12
	v_cvt_f64_f32_e32 v[0:1], v1
	v_add_nc_u32_e32 v12, 0xfffffc10, v15
	v_bfe_u32 v15, v10, 20, 11
	v_lshrrev_b32_e32 v10, 16, v10
	v_cndmask_b32_e64 v9, 0, 1, vcc_lo
	v_cmp_ne_u32_e32 vcc_lo, 0, v6
	v_or_b32_e32 v9, v17, v9
	v_cndmask_b32_e64 v6, 0, 1, vcc_lo
	v_cmp_ne_u32_e32 vcc_lo, 0, v2
	v_lshl_or_b32 v17, v12, 12, v11
	v_and_or_b32 v13, 0xffe, v13, v6
	v_cndmask_b32_e64 v2, 0, 1, vcc_lo
	v_sub_nc_u32_e32 v6, 0x3f1, v15
	v_cmp_gt_i32_e32 vcc_lo, 1, v12
	v_lshl_or_b32 v2, v2, 9, 0x7c00
	v_med3_i32 v6, v6, 0, 13
	v_cndmask_b32_e32 v9, v17, v9, vcc_lo
	v_or_b32_e32 v17, 0x1000, v13
	v_mul_f64 v[0:1], v[0:1], s[8:9]
	v_cmp_eq_u32_e32 vcc_lo, 0x40f, v18
	v_lshrrev_b32_e32 v18, 16, v3
	v_and_b32_e32 v19, 7, v9
	v_lshrrev_b32_e32 v20, v6, v17
	v_cndmask_b32_e32 v4, v4, v2, vcc_lo
	v_add_co_u32 v2, vcc_lo, v7, s6
	v_lshlrev_b32_e32 v6, v6, v20
	v_add_co_ci_u32_e32 v3, vcc_lo, s3, v8, vcc_lo
	v_mul_f16_sdwa v7, v141, v21 dst_sel:DWORD dst_unused:UNUSED_PAD src0_sel:WORD_1 src1_sel:DWORD
	v_cmp_lt_i32_e32 vcc_lo, 5, v19
	v_cmp_eq_u32_e64 s0, 3, v19
	v_lshrrev_b32_e32 v8, 2, v9
	v_cmp_ne_u32_e64 s1, v6, v17
	v_fmac_f16_e32 v7, v141, v5
	v_add_nc_u32_e32 v9, 0xfffffc10, v15
	s_or_b32 vcc_lo, s0, vcc_lo
	v_and_or_b32 v4, 0x8000, v18, v4
	v_add_co_ci_u32_e32 v8, vcc_lo, 0, v8, vcc_lo
	v_cndmask_b32_e64 v6, 0, 1, s1
	v_cmp_ne_u32_e32 vcc_lo, 0, v11
	v_cvt_f32_f16_e32 v7, v7
	v_lshl_or_b32 v17, v9, 12, v13
	v_and_or_b32 v0, 0x1ff, v1, v0
	v_or_b32_e32 v15, v20, v6
	v_cndmask_b32_e64 v11, 0, 1, vcc_lo
	v_cmp_gt_i32_e32 vcc_lo, 1, v9
	v_cvt_f64_f32_e32 v[6:7], v7
	v_bfe_u32 v18, v1, 20, 11
	v_and_b32_e32 v4, 0xffff, v4
	v_lshl_or_b32 v11, v11, 9, 0x7c00
	v_cndmask_b32_e32 v15, v17, v15, vcc_lo
	v_cmp_ne_u32_e32 vcc_lo, 0, v0
	v_lshrrev_b32_e32 v17, 8, v1
	v_mul_f16_sdwa v5, v141, v5 dst_sel:DWORD dst_unused:UNUSED_PAD src0_sel:WORD_1 src1_sel:DWORD
	v_and_b32_e32 v19, 7, v15
	v_cndmask_b32_e64 v0, 0, 1, vcc_lo
	v_cmp_gt_i32_e32 vcc_lo, 31, v12
	v_fma_f16 v5, v141, v21, -v5
	v_cmp_eq_u32_e64 s0, 3, v19
	v_and_or_b32 v0, 0xffe, v17, v0
	v_cndmask_b32_e32 v8, 0x7c00, v8, vcc_lo
	v_cmp_eq_u32_e32 vcc_lo, 0x40f, v12
	v_lshrrev_b32_e32 v12, 16, v14
	v_or_b32_e32 v14, 0x1000, v0
	v_cndmask_b32_e32 v8, v8, v11, vcc_lo
	v_sub_nc_u32_e32 v11, 0x3f1, v18
	v_cmp_lt_i32_e32 vcc_lo, 5, v19
	v_mul_f64 v[6:7], v[6:7], s[8:9]
	v_and_or_b32 v8, 0x8000, v12, v8
	v_lshrrev_b32_e32 v12, 2, v15
	v_med3_i32 v11, v11, 0, 13
	s_or_b32 vcc_lo, s0, vcc_lo
	v_lshl_or_b32 v17, v8, 16, v4
	v_add_co_ci_u32_e32 v12, vcc_lo, 0, v12, vcc_lo
	v_lshrrev_b32_e32 v15, v11, v14
	v_cmp_ne_u32_e32 vcc_lo, 0, v13
	v_lshlrev_b32_e32 v4, v11, v15
	v_cndmask_b32_e64 v13, 0, 1, vcc_lo
	v_cmp_gt_i32_e32 vcc_lo, 31, v9
	v_lshl_or_b32 v11, v13, 9, 0x7c00
	v_cndmask_b32_e32 v8, 0x7c00, v12, vcc_lo
	v_cmp_ne_u32_e32 vcc_lo, v4, v14
	ds_read_b32 v12, v139 offset:7480
	v_and_or_b32 v6, 0x1ff, v7, v6
	v_add_nc_u32_e32 v13, 0xfffffc10, v18
	v_lshrrev_b32_e32 v14, 8, v7
	v_cndmask_b32_e64 v4, 0, 1, vcc_lo
	v_cmp_eq_u32_e32 vcc_lo, 0x40f, v9
	v_lshl_or_b32 v9, v13, 12, v0
	v_cndmask_b32_e32 v11, v8, v11, vcc_lo
	v_cmp_ne_u32_e32 vcc_lo, 0, v6
	v_or_b32_e32 v8, v15, v4
	v_cvt_f32_f16_e32 v4, v5
	v_bfe_u32 v15, v7, 20, 11
	v_and_or_b32 v23, 0x8000, v10, v11
	v_cndmask_b32_e64 v6, 0, 1, vcc_lo
	v_cmp_gt_i32_e32 vcc_lo, 1, v13
	v_cvt_f64_f32_e32 v[4:5], v4
	v_lshrrev_b32_e32 v7, 16, v7
	v_and_or_b32 v6, 0xffe, v14, v6
	v_cndmask_b32_e32 v18, v9, v8, vcc_lo
	v_sub_nc_u32_e32 v8, 0x3f1, v15
	s_waitcnt lgkmcnt(0)
	v_lshrrev_b32_e32 v14, 16, v12
	v_add_nc_u32_e32 v15, 0xfffffc10, v15
	v_or_b32_e32 v20, 0x1000, v6
	v_and_b32_e32 v19, 7, v18
	v_med3_i32 v21, v8, 0, 13
	v_mul_f16_sdwa v22, v140, v14 dst_sel:DWORD dst_unused:UNUSED_PAD src0_sel:WORD_1 src1_sel:DWORD
	v_add_co_u32 v8, vcc_lo, v2, s6
	v_add_co_ci_u32_e32 v9, vcc_lo, s3, v3, vcc_lo
	v_lshrrev_b32_e32 v24, v21, v20
	v_fmac_f16_e32 v22, v140, v12
	v_cmp_lt_i32_e32 vcc_lo, 5, v19
	v_cmp_eq_u32_e64 s0, 3, v19
	v_lshrrev_b32_e32 v10, 2, v18
	v_lshlrev_b32_e32 v18, v21, v24
	v_cvt_f32_f16_e32 v11, v22
	v_mul_f64 v[4:5], v[4:5], s[8:9]
	s_or_b32 vcc_lo, s0, vcc_lo
	v_mul_f16_sdwa v12, v140, v12 dst_sel:DWORD dst_unused:UNUSED_PAD src0_sel:WORD_1 src1_sel:DWORD
	v_add_co_ci_u32_e32 v19, vcc_lo, 0, v10, vcc_lo
	v_cmp_ne_u32_e32 vcc_lo, v18, v20
	v_cvt_f64_f32_e32 v[10:11], v11
	v_lshl_or_b32 v20, v15, 12, v6
	v_fma_f16 v12, v140, v14, -v12
	v_cndmask_b32_e64 v18, 0, 1, vcc_lo
	v_cmp_ne_u32_e32 vcc_lo, 0, v0
	v_cvt_f32_f16_e32 v12, v12
	v_or_b32_e32 v18, v24, v18
	v_cndmask_b32_e64 v0, 0, 1, vcc_lo
	v_cmp_gt_i32_e32 vcc_lo, 31, v13
	v_lshl_or_b32 v0, v0, 9, 0x7c00
	v_cndmask_b32_e32 v14, 0x7c00, v19, vcc_lo
	v_cmp_gt_i32_e32 vcc_lo, 1, v15
	v_and_or_b32 v4, 0x1ff, v5, v4
	v_lshrrev_b32_e32 v19, 8, v5
	v_cndmask_b32_e32 v18, v20, v18, vcc_lo
	v_cmp_eq_u32_e32 vcc_lo, 0x40f, v13
	v_mul_f64 v[10:11], v[10:11], s[8:9]
	v_bfe_u32 v20, v5, 20, 11
	v_lshrrev_b32_e32 v5, 16, v5
	v_cndmask_b32_e32 v13, v14, v0, vcc_lo
	v_lshrrev_b32_e32 v14, 16, v1
	v_cvt_f64_f32_e32 v[0:1], v12
	v_cmp_ne_u32_e32 vcc_lo, 0, v4
	v_and_b32_e32 v12, 7, v18
	v_and_or_b32 v13, 0x8000, v14, v13
	v_and_b32_e32 v14, 0xffff, v23
	v_cndmask_b32_e64 v4, 0, 1, vcc_lo
	v_cmp_lt_i32_e32 vcc_lo, 5, v12
	v_cmp_eq_u32_e64 s0, 3, v12
	v_lshl_or_b32 v12, v13, 16, v14
	v_lshrrev_b32_e32 v13, 2, v18
	v_and_or_b32 v4, 0xffe, v19, v4
	v_sub_nc_u32_e32 v19, 0x3f1, v20
	s_or_b32 vcc_lo, s0, vcc_lo
	v_add_co_ci_u32_e32 v13, vcc_lo, 0, v13, vcc_lo
	v_or_b32_e32 v14, 0x1000, v4
	v_med3_i32 v18, v19, 0, 13
	v_cmp_ne_u32_e32 vcc_lo, 0, v6
	v_and_or_b32 v10, 0x1ff, v11, v10
	v_mul_f64 v[0:1], v[0:1], s[8:9]
	v_lshrrev_b32_e32 v21, 8, v11
	v_lshrrev_b32_e32 v19, v18, v14
	v_cndmask_b32_e64 v6, 0, 1, vcc_lo
	v_cmp_gt_i32_e32 vcc_lo, 31, v15
	v_bfe_u32 v22, v11, 20, 11
	v_lshrrev_b32_e32 v11, 16, v11
	v_lshlrev_b32_e32 v18, v18, v19
	v_lshl_or_b32 v6, v6, 9, 0x7c00
	v_cndmask_b32_e32 v13, 0x7c00, v13, vcc_lo
	v_cmp_ne_u32_e32 vcc_lo, 0, v10
	v_cndmask_b32_e64 v10, 0, 1, vcc_lo
	v_cmp_ne_u32_e32 vcc_lo, v18, v14
	v_add_nc_u32_e32 v18, 0xfffffc10, v20
	v_sub_nc_u32_e32 v20, 0x3f1, v22
	v_and_or_b32 v10, 0xffe, v21, v10
	v_cndmask_b32_e64 v14, 0, 1, vcc_lo
	v_cmp_eq_u32_e32 vcc_lo, 0x40f, v15
	v_and_or_b32 v0, 0x1ff, v1, v0
	v_bfe_u32 v21, v1, 20, 11
	v_or_b32_e32 v15, 0x1000, v10
	v_cndmask_b32_e32 v6, v13, v6, vcc_lo
	v_or_b32_e32 v13, v19, v14
	v_lshl_or_b32 v14, v18, 12, v4
	v_med3_i32 v19, v20, 0, 13
	v_cmp_gt_i32_e32 vcc_lo, 1, v18
	v_lshrrev_b32_e32 v20, 8, v1
	v_and_or_b32 v6, 0x8000, v7, v6
	v_sub_nc_u32_e32 v7, 0x3f1, v21
	v_cndmask_b32_e32 v13, v14, v13, vcc_lo
	v_lshrrev_b32_e32 v14, v19, v15
	v_cmp_ne_u32_e32 vcc_lo, 0, v0
	v_med3_i32 v7, v7, 0, 13
	v_and_b32_e32 v23, 7, v13
	v_lshlrev_b32_e32 v19, v19, v14
	v_cndmask_b32_e64 v0, 0, 1, vcc_lo
	v_lshrrev_b32_e32 v13, 2, v13
	v_cmp_lt_i32_e32 vcc_lo, 5, v23
	v_cmp_ne_u32_e64 s0, v19, v15
	v_and_or_b32 v0, 0xffe, v20, v0
	v_add_nc_u32_e32 v20, 0xfffffc10, v22
	v_cndmask_b32_e64 v15, 0, 1, s0
	v_cmp_eq_u32_e64 s0, 3, v23
	v_or_b32_e32 v19, 0x1000, v0
	v_lshl_or_b32 v22, v20, 12, v10
	v_or_b32_e32 v14, v14, v15
	s_or_b32 vcc_lo, s0, vcc_lo
	v_lshrrev_b32_e32 v15, v7, v19
	v_add_co_ci_u32_e32 v13, vcc_lo, 0, v13, vcc_lo
	v_cmp_gt_i32_e32 vcc_lo, 1, v20
	v_lshlrev_b32_e32 v7, v7, v15
	v_cndmask_b32_e32 v14, v22, v14, vcc_lo
	v_cmp_ne_u32_e32 vcc_lo, 0, v4
	v_cndmask_b32_e64 v4, 0, 1, vcc_lo
	v_cmp_ne_u32_e32 vcc_lo, v7, v19
	v_add_nc_u32_e32 v19, 0xfffffc10, v21
	v_and_b32_e32 v21, 7, v14
	v_lshl_or_b32 v4, v4, 9, 0x7c00
	v_cndmask_b32_e64 v7, 0, 1, vcc_lo
	v_cmp_gt_i32_e32 vcc_lo, 31, v18
	v_cmp_gt_i32_e64 s1, 1, v19
	v_cmp_eq_u32_e64 s0, 3, v21
	v_or_b32_e32 v7, v15, v7
	v_lshl_or_b32 v15, v19, 12, v0
	v_cndmask_b32_e32 v13, 0x7c00, v13, vcc_lo
	v_cmp_lt_i32_e32 vcc_lo, 5, v21
	v_cndmask_b32_e64 v7, v15, v7, s1
	v_cmp_eq_u32_e64 s1, 0x40f, v18
	s_or_b32 vcc_lo, s0, vcc_lo
	v_cndmask_b32_e64 v4, v13, v4, s1
	v_lshrrev_b32_e32 v13, 2, v14
	v_and_b32_e32 v14, 7, v7
	v_lshrrev_b32_e32 v7, 2, v7
	v_cmp_gt_i32_e64 s1, 31, v20
	v_and_or_b32 v4, 0x8000, v5, v4
	v_add_co_ci_u32_e32 v13, vcc_lo, 0, v13, vcc_lo
	v_cmp_ne_u32_e32 vcc_lo, 0, v10
	v_cmp_eq_u32_e64 s0, 3, v14
	v_and_b32_e32 v5, 0xffff, v6
	v_cndmask_b32_e64 v13, 0x7c00, v13, s1
	v_cndmask_b32_e64 v10, 0, 1, vcc_lo
	v_cmp_lt_i32_e32 vcc_lo, 5, v14
	v_lshl_or_b32 v10, v10, 9, 0x7c00
	s_or_b32 vcc_lo, s0, vcc_lo
	v_add_co_ci_u32_e32 v7, vcc_lo, 0, v7, vcc_lo
	v_cmp_ne_u32_e32 vcc_lo, 0, v0
	v_cndmask_b32_e64 v0, 0, 1, vcc_lo
	v_cmp_eq_u32_e32 vcc_lo, 0x40f, v20
	v_lshl_or_b32 v0, v0, 9, 0x7c00
	v_cndmask_b32_e32 v10, v13, v10, vcc_lo
	v_cmp_gt_i32_e32 vcc_lo, 31, v19
	v_and_or_b32 v6, 0x8000, v11, v10
	v_cndmask_b32_e32 v7, 0x7c00, v7, vcc_lo
	v_cmp_eq_u32_e32 vcc_lo, 0x40f, v19
	v_lshrrev_b32_e32 v10, 16, v1
	v_lshl_or_b32 v11, v4, 16, v5
	v_and_b32_e32 v6, 0xffff, v6
	v_cndmask_b32_e32 v7, v7, v0, vcc_lo
	v_add_co_u32 v0, vcc_lo, v8, s6
	v_add_co_ci_u32_e32 v1, vcc_lo, s3, v9, vcc_lo
	v_and_or_b32 v7, 0x8000, v10, v7
	v_add_co_u32 v4, vcc_lo, v0, s6
	v_add_co_ci_u32_e32 v5, vcc_lo, s3, v1, vcc_lo
	v_lshl_or_b32 v10, v7, 16, v6
	v_add_co_u32 v6, vcc_lo, v4, s6
	v_add_co_ci_u32_e32 v7, vcc_lo, s3, v5, vcc_lo
	global_store_dword v[2:3], v16, off
	global_store_dword v[8:9], v17, off
	;; [unrolled: 1-line block ×5, first 2 shown]
.LBB0_10:
	s_endpgm
	.section	.rodata,"a",@progbits
	.p2align	6, 0x0
	.amdhsa_kernel bluestein_single_back_len1925_dim1_half_op_CI_CI
		.amdhsa_group_segment_fixed_size 7700
		.amdhsa_private_segment_fixed_size 0
		.amdhsa_kernarg_size 104
		.amdhsa_user_sgpr_count 6
		.amdhsa_user_sgpr_private_segment_buffer 1
		.amdhsa_user_sgpr_dispatch_ptr 0
		.amdhsa_user_sgpr_queue_ptr 0
		.amdhsa_user_sgpr_kernarg_segment_ptr 1
		.amdhsa_user_sgpr_dispatch_id 0
		.amdhsa_user_sgpr_flat_scratch_init 0
		.amdhsa_user_sgpr_private_segment_size 0
		.amdhsa_wavefront_size32 1
		.amdhsa_uses_dynamic_stack 0
		.amdhsa_system_sgpr_private_segment_wavefront_offset 0
		.amdhsa_system_sgpr_workgroup_id_x 1
		.amdhsa_system_sgpr_workgroup_id_y 0
		.amdhsa_system_sgpr_workgroup_id_z 0
		.amdhsa_system_sgpr_workgroup_info 0
		.amdhsa_system_vgpr_workitem_id 0
		.amdhsa_next_free_vgpr 241
		.amdhsa_next_free_sgpr 20
		.amdhsa_reserve_vcc 1
		.amdhsa_reserve_flat_scratch 0
		.amdhsa_float_round_mode_32 0
		.amdhsa_float_round_mode_16_64 0
		.amdhsa_float_denorm_mode_32 3
		.amdhsa_float_denorm_mode_16_64 3
		.amdhsa_dx10_clamp 1
		.amdhsa_ieee_mode 1
		.amdhsa_fp16_overflow 0
		.amdhsa_workgroup_processor_mode 1
		.amdhsa_memory_ordered 1
		.amdhsa_forward_progress 0
		.amdhsa_shared_vgpr_count 0
		.amdhsa_exception_fp_ieee_invalid_op 0
		.amdhsa_exception_fp_denorm_src 0
		.amdhsa_exception_fp_ieee_div_zero 0
		.amdhsa_exception_fp_ieee_overflow 0
		.amdhsa_exception_fp_ieee_underflow 0
		.amdhsa_exception_fp_ieee_inexact 0
		.amdhsa_exception_int_div_zero 0
	.end_amdhsa_kernel
	.text
.Lfunc_end0:
	.size	bluestein_single_back_len1925_dim1_half_op_CI_CI, .Lfunc_end0-bluestein_single_back_len1925_dim1_half_op_CI_CI
                                        ; -- End function
	.section	.AMDGPU.csdata,"",@progbits
; Kernel info:
; codeLenInByte = 66728
; NumSgprs: 22
; NumVgprs: 241
; ScratchSize: 0
; MemoryBound: 0
; FloatMode: 240
; IeeeMode: 1
; LDSByteSize: 7700 bytes/workgroup (compile time only)
; SGPRBlocks: 2
; VGPRBlocks: 30
; NumSGPRsForWavesPerEU: 22
; NumVGPRsForWavesPerEU: 241
; Occupancy: 4
; WaveLimiterHint : 1
; COMPUTE_PGM_RSRC2:SCRATCH_EN: 0
; COMPUTE_PGM_RSRC2:USER_SGPR: 6
; COMPUTE_PGM_RSRC2:TRAP_HANDLER: 0
; COMPUTE_PGM_RSRC2:TGID_X_EN: 1
; COMPUTE_PGM_RSRC2:TGID_Y_EN: 0
; COMPUTE_PGM_RSRC2:TGID_Z_EN: 0
; COMPUTE_PGM_RSRC2:TIDIG_COMP_CNT: 0
	.text
	.p2alignl 6, 3214868480
	.fill 48, 4, 3214868480
	.type	__hip_cuid_c3948fdcdd54c2d2,@object ; @__hip_cuid_c3948fdcdd54c2d2
	.section	.bss,"aw",@nobits
	.globl	__hip_cuid_c3948fdcdd54c2d2
__hip_cuid_c3948fdcdd54c2d2:
	.byte	0                               ; 0x0
	.size	__hip_cuid_c3948fdcdd54c2d2, 1

	.ident	"AMD clang version 19.0.0git (https://github.com/RadeonOpenCompute/llvm-project roc-6.4.0 25133 c7fe45cf4b819c5991fe208aaa96edf142730f1d)"
	.section	".note.GNU-stack","",@progbits
	.addrsig
	.addrsig_sym __hip_cuid_c3948fdcdd54c2d2
	.amdgpu_metadata
---
amdhsa.kernels:
  - .args:
      - .actual_access:  read_only
        .address_space:  global
        .offset:         0
        .size:           8
        .value_kind:     global_buffer
      - .actual_access:  read_only
        .address_space:  global
        .offset:         8
        .size:           8
        .value_kind:     global_buffer
      - .actual_access:  read_only
        .address_space:  global
        .offset:         16
        .size:           8
        .value_kind:     global_buffer
      - .actual_access:  read_only
        .address_space:  global
        .offset:         24
        .size:           8
        .value_kind:     global_buffer
      - .actual_access:  read_only
        .address_space:  global
        .offset:         32
        .size:           8
        .value_kind:     global_buffer
      - .offset:         40
        .size:           8
        .value_kind:     by_value
      - .address_space:  global
        .offset:         48
        .size:           8
        .value_kind:     global_buffer
      - .address_space:  global
        .offset:         56
        .size:           8
        .value_kind:     global_buffer
      - .address_space:  global
        .offset:         64
        .size:           8
        .value_kind:     global_buffer
      - .address_space:  global
        .offset:         72
        .size:           8
        .value_kind:     global_buffer
      - .offset:         80
        .size:           4
        .value_kind:     by_value
      - .address_space:  global
        .offset:         88
        .size:           8
        .value_kind:     global_buffer
      - .address_space:  global
        .offset:         96
        .size:           8
        .value_kind:     global_buffer
    .group_segment_fixed_size: 7700
    .kernarg_segment_align: 8
    .kernarg_segment_size: 104
    .language:       OpenCL C
    .language_version:
      - 2
      - 0
    .max_flat_workgroup_size: 55
    .name:           bluestein_single_back_len1925_dim1_half_op_CI_CI
    .private_segment_fixed_size: 0
    .sgpr_count:     22
    .sgpr_spill_count: 0
    .symbol:         bluestein_single_back_len1925_dim1_half_op_CI_CI.kd
    .uniform_work_group_size: 1
    .uses_dynamic_stack: false
    .vgpr_count:     241
    .vgpr_spill_count: 0
    .wavefront_size: 32
    .workgroup_processor_mode: 1
amdhsa.target:   amdgcn-amd-amdhsa--gfx1030
amdhsa.version:
  - 1
  - 2
...

	.end_amdgpu_metadata
